;; amdgpu-corpus repo=ROCm/rocFFT kind=compiled arch=gfx1201 opt=O3
	.text
	.amdgcn_target "amdgcn-amd-amdhsa--gfx1201"
	.amdhsa_code_object_version 6
	.protected	fft_rtc_fwd_len3456_factors_6_6_6_4_4_wgs_144_tpt_144_halfLds_sp_ip_CI_unitstride_sbrr_C2R_dirReg ; -- Begin function fft_rtc_fwd_len3456_factors_6_6_6_4_4_wgs_144_tpt_144_halfLds_sp_ip_CI_unitstride_sbrr_C2R_dirReg
	.globl	fft_rtc_fwd_len3456_factors_6_6_6_4_4_wgs_144_tpt_144_halfLds_sp_ip_CI_unitstride_sbrr_C2R_dirReg
	.p2align	8
	.type	fft_rtc_fwd_len3456_factors_6_6_6_4_4_wgs_144_tpt_144_halfLds_sp_ip_CI_unitstride_sbrr_C2R_dirReg,@function
fft_rtc_fwd_len3456_factors_6_6_6_4_4_wgs_144_tpt_144_halfLds_sp_ip_CI_unitstride_sbrr_C2R_dirReg: ; @fft_rtc_fwd_len3456_factors_6_6_6_4_4_wgs_144_tpt_144_halfLds_sp_ip_CI_unitstride_sbrr_C2R_dirReg
; %bb.0:
	s_clause 0x2
	s_load_b128 s[4:7], s[0:1], 0x0
	s_load_b64 s[8:9], s[0:1], 0x50
	s_load_b64 s[10:11], s[0:1], 0x18
	v_mul_u32_u24_e32 v1, 0x1c8, v0
	v_mov_b32_e32 v3, 0
	s_delay_alu instid0(VALU_DEP_2) | instskip(NEXT) | instid1(VALU_DEP_1)
	v_lshrrev_b32_e32 v1, 16, v1
	v_add_nc_u32_e32 v5, ttmp9, v1
	v_mov_b32_e32 v1, 0
	v_mov_b32_e32 v2, 0
	;; [unrolled: 1-line block ×3, first 2 shown]
	s_wait_kmcnt 0x0
	v_cmp_lt_u64_e64 s2, s[6:7], 2
	s_delay_alu instid0(VALU_DEP_1)
	s_and_b32 vcc_lo, exec_lo, s2
	s_cbranch_vccnz .LBB0_8
; %bb.1:
	s_load_b64 s[2:3], s[0:1], 0x10
	v_mov_b32_e32 v1, 0
	v_mov_b32_e32 v2, 0
	s_add_nc_u64 s[12:13], s[10:11], 8
	s_mov_b64 s[14:15], 1
	s_wait_kmcnt 0x0
	s_add_nc_u64 s[16:17], s[2:3], 8
	s_mov_b32 s3, 0
.LBB0_2:                                ; =>This Inner Loop Header: Depth=1
	s_load_b64 s[18:19], s[16:17], 0x0
                                        ; implicit-def: $vgpr7_vgpr8
	s_mov_b32 s2, exec_lo
	s_wait_kmcnt 0x0
	v_or_b32_e32 v4, s19, v6
	s_delay_alu instid0(VALU_DEP_1)
	v_cmpx_ne_u64_e32 0, v[3:4]
	s_wait_alu 0xfffe
	s_xor_b32 s20, exec_lo, s2
	s_cbranch_execz .LBB0_4
; %bb.3:                                ;   in Loop: Header=BB0_2 Depth=1
	s_cvt_f32_u32 s2, s18
	s_cvt_f32_u32 s21, s19
	s_sub_nc_u64 s[24:25], 0, s[18:19]
	s_wait_alu 0xfffe
	s_delay_alu instid0(SALU_CYCLE_1) | instskip(SKIP_1) | instid1(SALU_CYCLE_2)
	s_fmamk_f32 s2, s21, 0x4f800000, s2
	s_wait_alu 0xfffe
	v_s_rcp_f32 s2, s2
	s_delay_alu instid0(TRANS32_DEP_1) | instskip(SKIP_1) | instid1(SALU_CYCLE_2)
	s_mul_f32 s2, s2, 0x5f7ffffc
	s_wait_alu 0xfffe
	s_mul_f32 s21, s2, 0x2f800000
	s_wait_alu 0xfffe
	s_delay_alu instid0(SALU_CYCLE_2) | instskip(SKIP_1) | instid1(SALU_CYCLE_2)
	s_trunc_f32 s21, s21
	s_wait_alu 0xfffe
	s_fmamk_f32 s2, s21, 0xcf800000, s2
	s_cvt_u32_f32 s23, s21
	s_wait_alu 0xfffe
	s_delay_alu instid0(SALU_CYCLE_1) | instskip(SKIP_1) | instid1(SALU_CYCLE_2)
	s_cvt_u32_f32 s22, s2
	s_wait_alu 0xfffe
	s_mul_u64 s[26:27], s[24:25], s[22:23]
	s_wait_alu 0xfffe
	s_mul_hi_u32 s29, s22, s27
	s_mul_i32 s28, s22, s27
	s_mul_hi_u32 s2, s22, s26
	s_mul_i32 s30, s23, s26
	s_wait_alu 0xfffe
	s_add_nc_u64 s[28:29], s[2:3], s[28:29]
	s_mul_hi_u32 s21, s23, s26
	s_mul_hi_u32 s31, s23, s27
	s_add_co_u32 s2, s28, s30
	s_wait_alu 0xfffe
	s_add_co_ci_u32 s2, s29, s21
	s_mul_i32 s26, s23, s27
	s_add_co_ci_u32 s27, s31, 0
	s_wait_alu 0xfffe
	s_add_nc_u64 s[26:27], s[2:3], s[26:27]
	s_wait_alu 0xfffe
	v_add_co_u32 v4, s2, s22, s26
	s_delay_alu instid0(VALU_DEP_1) | instskip(SKIP_1) | instid1(VALU_DEP_1)
	s_cmp_lg_u32 s2, 0
	s_add_co_ci_u32 s23, s23, s27
	v_readfirstlane_b32 s22, v4
	s_wait_alu 0xfffe
	s_delay_alu instid0(VALU_DEP_1)
	s_mul_u64 s[24:25], s[24:25], s[22:23]
	s_wait_alu 0xfffe
	s_mul_hi_u32 s27, s22, s25
	s_mul_i32 s26, s22, s25
	s_mul_hi_u32 s2, s22, s24
	s_mul_i32 s28, s23, s24
	s_wait_alu 0xfffe
	s_add_nc_u64 s[26:27], s[2:3], s[26:27]
	s_mul_hi_u32 s21, s23, s24
	s_mul_hi_u32 s22, s23, s25
	s_wait_alu 0xfffe
	s_add_co_u32 s2, s26, s28
	s_add_co_ci_u32 s2, s27, s21
	s_mul_i32 s24, s23, s25
	s_add_co_ci_u32 s25, s22, 0
	s_wait_alu 0xfffe
	s_add_nc_u64 s[24:25], s[2:3], s[24:25]
	s_wait_alu 0xfffe
	v_add_co_u32 v4, s2, v4, s24
	s_delay_alu instid0(VALU_DEP_1) | instskip(SKIP_1) | instid1(VALU_DEP_1)
	s_cmp_lg_u32 s2, 0
	s_add_co_ci_u32 s2, s23, s25
	v_mul_hi_u32 v13, v5, v4
	s_wait_alu 0xfffe
	v_mad_co_u64_u32 v[7:8], null, v5, s2, 0
	v_mad_co_u64_u32 v[9:10], null, v6, v4, 0
	;; [unrolled: 1-line block ×3, first 2 shown]
	s_delay_alu instid0(VALU_DEP_3) | instskip(SKIP_1) | instid1(VALU_DEP_4)
	v_add_co_u32 v4, vcc_lo, v13, v7
	s_wait_alu 0xfffd
	v_add_co_ci_u32_e32 v7, vcc_lo, 0, v8, vcc_lo
	s_delay_alu instid0(VALU_DEP_2) | instskip(SKIP_1) | instid1(VALU_DEP_2)
	v_add_co_u32 v4, vcc_lo, v4, v9
	s_wait_alu 0xfffd
	v_add_co_ci_u32_e32 v4, vcc_lo, v7, v10, vcc_lo
	s_wait_alu 0xfffd
	v_add_co_ci_u32_e32 v7, vcc_lo, 0, v12, vcc_lo
	s_delay_alu instid0(VALU_DEP_2) | instskip(SKIP_1) | instid1(VALU_DEP_2)
	v_add_co_u32 v4, vcc_lo, v4, v11
	s_wait_alu 0xfffd
	v_add_co_ci_u32_e32 v9, vcc_lo, 0, v7, vcc_lo
	s_delay_alu instid0(VALU_DEP_2) | instskip(SKIP_1) | instid1(VALU_DEP_3)
	v_mul_lo_u32 v10, s19, v4
	v_mad_co_u64_u32 v[7:8], null, s18, v4, 0
	v_mul_lo_u32 v11, s18, v9
	s_delay_alu instid0(VALU_DEP_2) | instskip(NEXT) | instid1(VALU_DEP_2)
	v_sub_co_u32 v7, vcc_lo, v5, v7
	v_add3_u32 v8, v8, v11, v10
	s_delay_alu instid0(VALU_DEP_1) | instskip(SKIP_1) | instid1(VALU_DEP_1)
	v_sub_nc_u32_e32 v10, v6, v8
	s_wait_alu 0xfffd
	v_subrev_co_ci_u32_e64 v10, s2, s19, v10, vcc_lo
	v_add_co_u32 v11, s2, v4, 2
	s_wait_alu 0xf1ff
	v_add_co_ci_u32_e64 v12, s2, 0, v9, s2
	v_sub_co_u32 v13, s2, v7, s18
	v_sub_co_ci_u32_e32 v8, vcc_lo, v6, v8, vcc_lo
	s_wait_alu 0xf1ff
	v_subrev_co_ci_u32_e64 v10, s2, 0, v10, s2
	s_delay_alu instid0(VALU_DEP_3) | instskip(NEXT) | instid1(VALU_DEP_3)
	v_cmp_le_u32_e32 vcc_lo, s18, v13
	v_cmp_eq_u32_e64 s2, s19, v8
	s_wait_alu 0xfffd
	v_cndmask_b32_e64 v13, 0, -1, vcc_lo
	v_cmp_le_u32_e32 vcc_lo, s19, v10
	s_wait_alu 0xfffd
	v_cndmask_b32_e64 v14, 0, -1, vcc_lo
	v_cmp_le_u32_e32 vcc_lo, s18, v7
	;; [unrolled: 3-line block ×3, first 2 shown]
	s_wait_alu 0xfffd
	v_cndmask_b32_e64 v15, 0, -1, vcc_lo
	v_cmp_eq_u32_e32 vcc_lo, s19, v10
	s_wait_alu 0xf1ff
	s_delay_alu instid0(VALU_DEP_2)
	v_cndmask_b32_e64 v7, v15, v7, s2
	s_wait_alu 0xfffd
	v_cndmask_b32_e32 v10, v14, v13, vcc_lo
	v_add_co_u32 v13, vcc_lo, v4, 1
	s_wait_alu 0xfffd
	v_add_co_ci_u32_e32 v14, vcc_lo, 0, v9, vcc_lo
	s_delay_alu instid0(VALU_DEP_3) | instskip(SKIP_2) | instid1(VALU_DEP_3)
	v_cmp_ne_u32_e32 vcc_lo, 0, v10
	s_wait_alu 0xfffd
	v_cndmask_b32_e32 v10, v13, v11, vcc_lo
	v_cndmask_b32_e32 v8, v14, v12, vcc_lo
	v_cmp_ne_u32_e32 vcc_lo, 0, v7
	s_wait_alu 0xfffd
	s_delay_alu instid0(VALU_DEP_2)
	v_dual_cndmask_b32 v7, v4, v10 :: v_dual_cndmask_b32 v8, v9, v8
.LBB0_4:                                ;   in Loop: Header=BB0_2 Depth=1
	s_wait_alu 0xfffe
	s_and_not1_saveexec_b32 s2, s20
	s_cbranch_execz .LBB0_6
; %bb.5:                                ;   in Loop: Header=BB0_2 Depth=1
	v_cvt_f32_u32_e32 v4, s18
	s_sub_co_i32 s20, 0, s18
	s_delay_alu instid0(VALU_DEP_1) | instskip(NEXT) | instid1(TRANS32_DEP_1)
	v_rcp_iflag_f32_e32 v4, v4
	v_mul_f32_e32 v4, 0x4f7ffffe, v4
	s_delay_alu instid0(VALU_DEP_1) | instskip(SKIP_1) | instid1(VALU_DEP_1)
	v_cvt_u32_f32_e32 v4, v4
	s_wait_alu 0xfffe
	v_mul_lo_u32 v7, s20, v4
	s_delay_alu instid0(VALU_DEP_1) | instskip(NEXT) | instid1(VALU_DEP_1)
	v_mul_hi_u32 v7, v4, v7
	v_add_nc_u32_e32 v4, v4, v7
	s_delay_alu instid0(VALU_DEP_1) | instskip(NEXT) | instid1(VALU_DEP_1)
	v_mul_hi_u32 v4, v5, v4
	v_mul_lo_u32 v7, v4, s18
	v_add_nc_u32_e32 v8, 1, v4
	s_delay_alu instid0(VALU_DEP_2) | instskip(NEXT) | instid1(VALU_DEP_1)
	v_sub_nc_u32_e32 v7, v5, v7
	v_subrev_nc_u32_e32 v9, s18, v7
	v_cmp_le_u32_e32 vcc_lo, s18, v7
	s_wait_alu 0xfffd
	s_delay_alu instid0(VALU_DEP_2) | instskip(NEXT) | instid1(VALU_DEP_1)
	v_dual_cndmask_b32 v7, v7, v9 :: v_dual_cndmask_b32 v4, v4, v8
	v_cmp_le_u32_e32 vcc_lo, s18, v7
	s_delay_alu instid0(VALU_DEP_2) | instskip(SKIP_1) | instid1(VALU_DEP_1)
	v_add_nc_u32_e32 v8, 1, v4
	s_wait_alu 0xfffd
	v_dual_cndmask_b32 v7, v4, v8 :: v_dual_mov_b32 v8, v3
.LBB0_6:                                ;   in Loop: Header=BB0_2 Depth=1
	s_wait_alu 0xfffe
	s_or_b32 exec_lo, exec_lo, s2
	s_load_b64 s[20:21], s[12:13], 0x0
	s_delay_alu instid0(VALU_DEP_1)
	v_mul_lo_u32 v4, v8, s18
	v_mul_lo_u32 v11, v7, s19
	v_mad_co_u64_u32 v[9:10], null, v7, s18, 0
	s_add_nc_u64 s[14:15], s[14:15], 1
	s_add_nc_u64 s[12:13], s[12:13], 8
	s_wait_alu 0xfffe
	v_cmp_ge_u64_e64 s2, s[14:15], s[6:7]
	s_add_nc_u64 s[16:17], s[16:17], 8
	s_delay_alu instid0(VALU_DEP_2) | instskip(NEXT) | instid1(VALU_DEP_3)
	v_add3_u32 v4, v10, v11, v4
	v_sub_co_u32 v5, vcc_lo, v5, v9
	s_wait_alu 0xfffd
	s_delay_alu instid0(VALU_DEP_2) | instskip(SKIP_3) | instid1(VALU_DEP_2)
	v_sub_co_ci_u32_e32 v4, vcc_lo, v6, v4, vcc_lo
	s_and_b32 vcc_lo, exec_lo, s2
	s_wait_kmcnt 0x0
	v_mul_lo_u32 v6, s21, v5
	v_mul_lo_u32 v4, s20, v4
	v_mad_co_u64_u32 v[1:2], null, s20, v5, v[1:2]
	s_delay_alu instid0(VALU_DEP_1)
	v_add3_u32 v2, v6, v2, v4
	s_wait_alu 0xfffe
	s_cbranch_vccnz .LBB0_9
; %bb.7:                                ;   in Loop: Header=BB0_2 Depth=1
	v_dual_mov_b32 v5, v7 :: v_dual_mov_b32 v6, v8
	s_branch .LBB0_2
.LBB0_8:
	v_dual_mov_b32 v8, v6 :: v_dual_mov_b32 v7, v5
.LBB0_9:
	s_lshl_b64 s[2:3], s[6:7], 3
	v_mul_hi_u32 v5, 0x1c71c72, v0
	s_wait_alu 0xfffe
	s_add_nc_u64 s[2:3], s[10:11], s[2:3]
	s_load_b64 s[2:3], s[2:3], 0x0
	s_load_b64 s[0:1], s[0:1], 0x20
	s_wait_kmcnt 0x0
	v_mul_lo_u32 v3, s2, v8
	v_mul_lo_u32 v4, s3, v7
	v_mad_co_u64_u32 v[1:2], null, s2, v7, v[1:2]
	v_cmp_gt_u64_e32 vcc_lo, s[0:1], v[7:8]
	s_delay_alu instid0(VALU_DEP_2) | instskip(SKIP_1) | instid1(VALU_DEP_2)
	v_add3_u32 v2, v4, v2, v3
	v_mul_u32_u24_e32 v3, 0x90, v5
	v_lshlrev_b64_e32 v[38:39], 3, v[1:2]
	s_delay_alu instid0(VALU_DEP_2)
	v_sub_nc_u32_e32 v36, v0, v3
	s_and_saveexec_b32 s1, vcc_lo
	s_cbranch_execz .LBB0_13
; %bb.10:
	s_delay_alu instid0(VALU_DEP_1)
	v_lshl_add_u32 v54, v36, 3, 0
	v_mov_b32_e32 v37, 0
	v_add_co_u32 v0, s0, s8, v38
	s_wait_alu 0xf1ff
	v_add_co_ci_u32_e64 v1, s0, s9, v39, s0
	v_add_nc_u32_e32 v56, 0x1000, v54
	v_lshlrev_b64_e32 v[2:3], 3, v[36:37]
	v_add_nc_u32_e32 v55, 0x800, v54
	v_add_nc_u32_e32 v57, 0x1800, v54
	;; [unrolled: 1-line block ×5, first 2 shown]
	v_add_co_u32 v2, s0, v0, v2
	s_wait_alu 0xf1ff
	v_add_co_ci_u32_e64 v3, s0, v1, v3, s0
	v_cmp_eq_u32_e64 s0, 0x8f, v36
	s_clause 0x17
	global_load_b64 v[4:5], v[2:3], off
	global_load_b64 v[6:7], v[2:3], off offset:1152
	global_load_b64 v[8:9], v[2:3], off offset:2304
	;; [unrolled: 1-line block ×23, first 2 shown]
	v_add_nc_u32_e32 v61, 0x3c00, v54
	v_add_nc_u32_e32 v62, 0x4800, v54
	v_add_nc_u32_e32 v63, 0x5000, v54
	v_add_nc_u32_e32 v64, 0x5800, v54
	v_add_nc_u32_e32 v65, 0x6000, v54
	s_wait_loadcnt 0x16
	ds_store_2addr_b64 v54, v[4:5], v[6:7] offset1:144
	s_wait_loadcnt 0x14
	ds_store_2addr_b64 v55, v[8:9], v[10:11] offset0:32 offset1:176
	s_wait_loadcnt 0x12
	ds_store_2addr_b64 v56, v[12:13], v[14:15] offset0:64 offset1:208
	s_wait_loadcnt 0x10
	ds_store_2addr_b64 v57, v[16:17], v[18:19] offset0:96 offset1:240
	s_wait_loadcnt 0xe
	ds_store_2addr_b64 v58, v[20:21], v[22:23] offset1:144
	s_wait_loadcnt 0xc
	ds_store_2addr_b64 v59, v[24:25], v[26:27] offset0:32 offset1:176
	s_wait_loadcnt 0xa
	ds_store_2addr_b64 v60, v[28:29], v[30:31] offset0:64 offset1:208
	s_wait_loadcnt 0x8
	ds_store_2addr_b64 v61, v[32:33], v[34:35] offset0:96 offset1:240
	;; [unrolled: 8-line block ×3, first 2 shown]
	s_and_saveexec_b32 s2, s0
	s_cbranch_execz .LBB0_12
; %bb.11:
	global_load_b64 v[0:1], v[0:1], off offset:27648
	v_mov_b32_e32 v36, 0x8f
	s_wait_loadcnt 0x0
	ds_store_b64 v37, v[0:1] offset:27648
.LBB0_12:
	s_wait_alu 0xfffe
	s_or_b32 exec_lo, exec_lo, s2
.LBB0_13:
	s_wait_alu 0xfffe
	s_or_b32 exec_lo, exec_lo, s1
	v_lshlrev_b32_e32 v0, 3, v36
	global_wb scope:SCOPE_SE
	s_wait_dscnt 0x0
	s_barrier_signal -1
	s_barrier_wait -1
	global_inv scope:SCOPE_SE
	v_add_nc_u32_e32 v50, 0, v0
	v_sub_nc_u32_e32 v4, 0, v0
	s_mov_b32 s1, exec_lo
                                        ; implicit-def: $vgpr2_vgpr3
	ds_load_b32 v5, v50
	ds_load_b32 v6, v4 offset:27648
	s_wait_dscnt 0x0
	v_dual_sub_f32 v1, v5, v6 :: v_dual_add_f32 v0, v6, v5
	v_cmpx_ne_u32_e32 0, v36
	s_wait_alu 0xfffe
	s_xor_b32 s1, exec_lo, s1
	s_cbranch_execz .LBB0_15
; %bb.14:
	v_dual_mov_b32 v37, 0 :: v_dual_sub_f32 v8, v5, v6
	s_delay_alu instid0(VALU_DEP_1) | instskip(NEXT) | instid1(VALU_DEP_1)
	v_lshlrev_b64_e32 v[0:1], 3, v[36:37]
	v_add_co_u32 v0, s0, s4, v0
	s_wait_alu 0xf1ff
	s_delay_alu instid0(VALU_DEP_2)
	v_add_co_ci_u32_e64 v1, s0, s5, v1, s0
	global_load_b64 v[2:3], v[0:1], off offset:27600
	ds_load_b32 v0, v4 offset:27652
	ds_load_b32 v1, v50 offset:4
	v_add_f32_e32 v7, v6, v5
	s_wait_dscnt 0x0
	v_dual_add_f32 v9, v0, v1 :: v_dual_sub_f32 v0, v1, v0
	s_wait_loadcnt 0x0
	s_delay_alu instid0(VALU_DEP_2) | instskip(NEXT) | instid1(VALU_DEP_2)
	v_fma_f32 v5, -v8, v3, v7
	v_fma_f32 v6, v9, v3, -v0
	v_fma_f32 v10, v8, v3, v7
	v_fma_f32 v1, v9, v3, v0
	s_delay_alu instid0(VALU_DEP_3) | instskip(NEXT) | instid1(VALU_DEP_3)
	v_dual_fmac_f32 v5, v2, v9 :: v_dual_fmac_f32 v6, v8, v2
	v_fma_f32 v0, -v2, v9, v10
	s_delay_alu instid0(VALU_DEP_3)
	v_fmac_f32_e32 v1, v8, v2
	v_dual_mov_b32 v2, v36 :: v_dual_mov_b32 v3, v37
	ds_store_b64 v4, v[5:6] offset:27648
.LBB0_15:
	s_wait_alu 0xfffe
	s_and_not1_saveexec_b32 s0, s1
	s_cbranch_execz .LBB0_17
; %bb.16:
	v_mov_b32_e32 v7, 0
	ds_load_b64 v[2:3], v7 offset:13824
	s_wait_dscnt 0x0
	v_dual_mul_f32 v6, -2.0, v3 :: v_dual_add_f32 v5, v2, v2
	v_mov_b32_e32 v2, 0
	v_mov_b32_e32 v3, 0
	ds_store_b64 v7, v[5:6] offset:13824
.LBB0_17:
	s_wait_alu 0xfffe
	s_or_b32 exec_lo, exec_lo, s0
	v_lshlrev_b64_e32 v[2:3], 3, v[2:3]
	s_add_nc_u64 s[0:1], s[4:5], 0x6bd0
	v_add_nc_u32_e32 v51, 0x2400, v50
	v_add_nc_u32_e32 v53, 0x4800, v50
	;; [unrolled: 1-line block ×4, first 2 shown]
	s_wait_alu 0xfffe
	v_add_co_u32 v2, s0, s0, v2
	s_wait_alu 0xf1ff
	v_add_co_ci_u32_e64 v3, s0, s1, v3, s0
	s_clause 0x6
	global_load_b64 v[5:6], v[2:3], off offset:1152
	global_load_b64 v[7:8], v[2:3], off offset:2304
	;; [unrolled: 1-line block ×7, first 2 shown]
	ds_store_b64 v50, v[0:1]
	ds_load_b64 v[0:1], v50 offset:1152
	ds_load_b64 v[19:20], v4 offset:26496
	global_load_b64 v[21:22], v[2:3], off offset:9216
	v_cmp_gt_u32_e64 s0, 0x48, v36
	v_add_nc_u32_e32 v62, 0x1b0, v36
	v_add_nc_u32_e32 v52, 0x3400, v50
	;; [unrolled: 1-line block ×4, first 2 shown]
	v_and_b32_e32 v46, 0xff, v36
	v_add_nc_u32_e32 v58, 0x3c00, v50
	v_add_nc_u32_e32 v60, 0x5000, v50
	s_delay_alu instid0(VALU_DEP_3) | instskip(SKIP_1) | instid1(VALU_DEP_2)
	v_mul_lo_u16 v49, 0xab, v46
	v_mul_lo_u16 v46, v46, 57
	v_lshrrev_b16 v49, 10, v49
	s_wait_dscnt 0x0
	v_add_f32_e32 v23, v0, v19
	v_add_f32_e32 v24, v20, v1
	v_dual_sub_f32 v25, v0, v19 :: v_dual_sub_f32 v0, v1, v20
	s_wait_loadcnt 0x7
	s_delay_alu instid0(VALU_DEP_1) | instskip(NEXT) | instid1(VALU_DEP_2)
	v_fma_f32 v26, v25, v6, v23
	v_fma_f32 v1, v24, v6, v0
	v_fma_f32 v19, -v25, v6, v23
	v_fma_f32 v20, v24, v6, -v0
	s_delay_alu instid0(VALU_DEP_4) | instskip(NEXT) | instid1(VALU_DEP_4)
	v_fma_f32 v0, -v5, v24, v26
	v_fmac_f32_e32 v1, v25, v5
	s_delay_alu instid0(VALU_DEP_4) | instskip(NEXT) | instid1(VALU_DEP_4)
	v_fmac_f32_e32 v19, v5, v24
	v_fmac_f32_e32 v20, v25, v5
	ds_store_b64 v50, v[0:1] offset:1152
	ds_store_b64 v4, v[19:20] offset:26496
	ds_load_b64 v[0:1], v50 offset:2304
	ds_load_b64 v[5:6], v4 offset:25344
	global_load_b64 v[19:20], v[2:3], off offset:10368
	s_wait_dscnt 0x0
	v_add_f32_e32 v23, v0, v5
	v_add_f32_e32 v24, v6, v1
	v_dual_sub_f32 v25, v0, v5 :: v_dual_sub_f32 v0, v1, v6
	s_wait_loadcnt 0x7
	s_delay_alu instid0(VALU_DEP_1) | instskip(NEXT) | instid1(VALU_DEP_2)
	v_fma_f32 v26, v25, v8, v23
	v_fma_f32 v1, v24, v8, v0
	v_fma_f32 v5, -v25, v8, v23
	v_fma_f32 v6, v24, v8, -v0
	s_delay_alu instid0(VALU_DEP_4) | instskip(NEXT) | instid1(VALU_DEP_4)
	v_fma_f32 v0, -v7, v24, v26
	v_fmac_f32_e32 v1, v25, v7
	s_delay_alu instid0(VALU_DEP_3)
	v_dual_fmac_f32 v5, v7, v24 :: v_dual_fmac_f32 v6, v25, v7
	ds_store_b64 v50, v[0:1] offset:2304
	ds_store_b64 v4, v[5:6] offset:25344
	ds_load_b64 v[0:1], v50 offset:3456
	ds_load_b64 v[5:6], v4 offset:24192
	global_load_b64 v[7:8], v[2:3], off offset:11520
	s_wait_dscnt 0x0
	v_add_f32_e32 v23, v0, v5
	v_add_f32_e32 v24, v6, v1
	v_dual_sub_f32 v25, v0, v5 :: v_dual_sub_f32 v0, v1, v6
	s_wait_loadcnt 0x7
	s_delay_alu instid0(VALU_DEP_1) | instskip(NEXT) | instid1(VALU_DEP_2)
	v_fma_f32 v26, v25, v10, v23
	v_fma_f32 v1, v24, v10, v0
	v_fma_f32 v5, -v25, v10, v23
	v_fma_f32 v6, v24, v10, -v0
	s_delay_alu instid0(VALU_DEP_4) | instskip(NEXT) | instid1(VALU_DEP_4)
	v_fma_f32 v0, -v9, v24, v26
	v_fmac_f32_e32 v1, v25, v9
	s_delay_alu instid0(VALU_DEP_4) | instskip(NEXT) | instid1(VALU_DEP_4)
	v_fmac_f32_e32 v5, v9, v24
	v_fmac_f32_e32 v6, v25, v9
	ds_store_b64 v50, v[0:1] offset:3456
	ds_store_b64 v4, v[5:6] offset:24192
	ds_load_b64 v[0:1], v50 offset:4608
	ds_load_b64 v[5:6], v4 offset:23040
	global_load_b64 v[2:3], v[2:3], off offset:12672
	s_wait_dscnt 0x0
	v_add_f32_e32 v9, v0, v5
	v_add_f32_e32 v10, v6, v1
	v_dual_sub_f32 v23, v0, v5 :: v_dual_sub_f32 v0, v1, v6
	s_wait_loadcnt 0x7
	s_delay_alu instid0(VALU_DEP_1) | instskip(NEXT) | instid1(VALU_DEP_2)
	v_fma_f32 v24, v23, v12, v9
	v_fma_f32 v1, v10, v12, v0
	v_fma_f32 v5, -v23, v12, v9
	v_fma_f32 v6, v10, v12, -v0
	s_delay_alu instid0(VALU_DEP_4) | instskip(NEXT) | instid1(VALU_DEP_4)
	v_fma_f32 v0, -v11, v10, v24
	v_fmac_f32_e32 v1, v23, v11
	s_delay_alu instid0(VALU_DEP_4) | instskip(NEXT) | instid1(VALU_DEP_4)
	v_fmac_f32_e32 v5, v11, v10
	v_fmac_f32_e32 v6, v23, v11
	ds_store_b64 v50, v[0:1] offset:4608
	ds_store_b64 v4, v[5:6] offset:23040
	ds_load_b64 v[0:1], v50 offset:5760
	ds_load_b64 v[5:6], v4 offset:21888
	v_mul_u32_u24_e32 v24, 6, v36
	s_delay_alu instid0(VALU_DEP_1) | instskip(NEXT) | instid1(VALU_DEP_1)
	v_lshl_add_u32 v45, v24, 3, 0
	v_add_nc_u32_e32 v92, 0x1b10, v45
	v_add_nc_u32_e32 v96, 0x3620, v45
	s_wait_dscnt 0x0
	v_add_f32_e32 v10, v6, v1
	v_add_f32_e32 v9, v0, v5
	v_dual_sub_f32 v11, v0, v5 :: v_dual_sub_f32 v0, v1, v6
	s_wait_loadcnt 0x6
	s_delay_alu instid0(VALU_DEP_1) | instskip(NEXT) | instid1(VALU_DEP_2)
	v_fma_f32 v12, v11, v14, v9
	v_fma_f32 v1, v10, v14, v0
	v_fma_f32 v5, -v11, v14, v9
	v_fma_f32 v6, v10, v14, -v0
	s_delay_alu instid0(VALU_DEP_4) | instskip(NEXT) | instid1(VALU_DEP_4)
	v_fma_f32 v0, -v13, v10, v12
	v_fmac_f32_e32 v1, v11, v13
	s_delay_alu instid0(VALU_DEP_3)
	v_dual_fmac_f32 v5, v13, v10 :: v_dual_fmac_f32 v6, v11, v13
	ds_store_b64 v50, v[0:1] offset:5760
	ds_store_b64 v4, v[5:6] offset:21888
	ds_load_b64 v[0:1], v50 offset:6912
	ds_load_b64 v[5:6], v4 offset:20736
	s_wait_dscnt 0x0
	v_add_f32_e32 v9, v0, v5
	v_sub_f32_e32 v11, v0, v5
	v_add_f32_e32 v10, v6, v1
	v_sub_f32_e32 v0, v1, v6
	s_wait_loadcnt 0x5
	s_delay_alu instid0(VALU_DEP_3) | instskip(SKIP_1) | instid1(VALU_DEP_3)
	v_fma_f32 v12, v11, v16, v9
	v_fma_f32 v5, -v11, v16, v9
	v_fma_f32 v1, v10, v16, v0
	s_delay_alu instid0(VALU_DEP_1) | instskip(SKIP_3) | instid1(VALU_DEP_3)
	v_fmac_f32_e32 v1, v11, v15
	v_fma_f32 v6, v10, v16, -v0
	v_fma_f32 v0, -v15, v10, v12
	v_fmac_f32_e32 v5, v15, v10
	v_fmac_f32_e32 v6, v11, v15
	ds_store_b64 v50, v[0:1] offset:6912
	ds_store_b64 v4, v[5:6] offset:20736
	ds_load_b64 v[0:1], v50 offset:8064
	ds_load_b64 v[5:6], v4 offset:19584
	s_wait_dscnt 0x0
	v_add_f32_e32 v10, v6, v1
	v_add_f32_e32 v9, v0, v5
	v_dual_sub_f32 v11, v0, v5 :: v_dual_sub_f32 v0, v1, v6
	s_wait_loadcnt 0x4
	s_delay_alu instid0(VALU_DEP_1) | instskip(NEXT) | instid1(VALU_DEP_2)
	v_fma_f32 v12, v11, v18, v9
	v_fma_f32 v1, v10, v18, v0
	v_fma_f32 v5, -v11, v18, v9
	v_fma_f32 v6, v10, v18, -v0
	s_delay_alu instid0(VALU_DEP_4) | instskip(NEXT) | instid1(VALU_DEP_4)
	v_fma_f32 v0, -v17, v10, v12
	v_fmac_f32_e32 v1, v11, v17
	s_delay_alu instid0(VALU_DEP_3)
	v_dual_fmac_f32 v5, v17, v10 :: v_dual_fmac_f32 v6, v11, v17
	ds_store_b64 v50, v[0:1] offset:8064
	ds_store_b64 v4, v[5:6] offset:19584
	ds_load_b64 v[0:1], v50 offset:9216
	ds_load_b64 v[5:6], v4 offset:18432
	s_wait_dscnt 0x0
	v_add_f32_e32 v9, v0, v5
	v_add_f32_e32 v10, v6, v1
	v_dual_sub_f32 v11, v0, v5 :: v_dual_sub_f32 v0, v1, v6
	s_wait_loadcnt 0x3
	s_delay_alu instid0(VALU_DEP_1) | instskip(NEXT) | instid1(VALU_DEP_2)
	v_fma_f32 v12, v11, v22, v9
	v_fma_f32 v1, v10, v22, v0
	v_fma_f32 v5, -v11, v22, v9
	v_fma_f32 v6, v10, v22, -v0
	s_delay_alu instid0(VALU_DEP_4) | instskip(NEXT) | instid1(VALU_DEP_4)
	v_fma_f32 v0, -v21, v10, v12
	v_fmac_f32_e32 v1, v11, v21
	s_delay_alu instid0(VALU_DEP_3)
	v_dual_fmac_f32 v5, v21, v10 :: v_dual_fmac_f32 v6, v11, v21
	ds_store_b64 v50, v[0:1] offset:9216
	ds_store_b64 v4, v[5:6] offset:18432
	ds_load_b64 v[0:1], v50 offset:10368
	ds_load_b64 v[5:6], v4 offset:17280
	s_wait_dscnt 0x0
	v_add_f32_e32 v9, v0, v5
	v_add_f32_e32 v10, v6, v1
	v_dual_sub_f32 v11, v0, v5 :: v_dual_sub_f32 v0, v1, v6
	s_wait_loadcnt 0x2
	s_delay_alu instid0(VALU_DEP_1) | instskip(NEXT) | instid1(VALU_DEP_2)
	v_fma_f32 v12, v11, v20, v9
	v_fma_f32 v1, v10, v20, v0
	v_fma_f32 v5, -v11, v20, v9
	v_fma_f32 v6, v10, v20, -v0
	s_delay_alu instid0(VALU_DEP_4) | instskip(NEXT) | instid1(VALU_DEP_4)
	v_fma_f32 v0, -v19, v10, v12
	v_fmac_f32_e32 v1, v11, v19
	s_delay_alu instid0(VALU_DEP_4) | instskip(NEXT) | instid1(VALU_DEP_4)
	v_fmac_f32_e32 v5, v19, v10
	v_fmac_f32_e32 v6, v11, v19
	ds_store_b64 v50, v[0:1] offset:10368
	ds_store_b64 v4, v[5:6] offset:17280
	ds_load_b64 v[0:1], v50 offset:11520
	ds_load_b64 v[5:6], v4 offset:16128
	s_wait_dscnt 0x0
	v_add_f32_e32 v10, v6, v1
	v_add_f32_e32 v9, v0, v5
	v_dual_sub_f32 v11, v0, v5 :: v_dual_sub_f32 v0, v1, v6
	s_wait_loadcnt 0x1
	s_delay_alu instid0(VALU_DEP_1) | instskip(NEXT) | instid1(VALU_DEP_2)
	v_fma_f32 v12, v11, v8, v9
	v_fma_f32 v1, v10, v8, v0
	v_fma_f32 v5, -v11, v8, v9
	v_fma_f32 v6, v10, v8, -v0
	s_delay_alu instid0(VALU_DEP_4) | instskip(NEXT) | instid1(VALU_DEP_4)
	v_fma_f32 v0, -v7, v10, v12
	v_fmac_f32_e32 v1, v11, v7
	s_delay_alu instid0(VALU_DEP_4) | instskip(NEXT) | instid1(VALU_DEP_4)
	v_fmac_f32_e32 v5, v7, v10
	v_fmac_f32_e32 v6, v11, v7
	ds_store_b64 v50, v[0:1] offset:11520
	ds_store_b64 v4, v[5:6] offset:16128
	ds_load_b64 v[0:1], v50 offset:12672
	ds_load_b64 v[5:6], v4 offset:14976
	s_wait_dscnt 0x0
	v_add_f32_e32 v8, v6, v1
	v_add_f32_e32 v7, v0, v5
	v_dual_sub_f32 v9, v0, v5 :: v_dual_sub_f32 v0, v1, v6
	s_wait_loadcnt 0x0
	s_delay_alu instid0(VALU_DEP_1) | instskip(NEXT) | instid1(VALU_DEP_2)
	v_fma_f32 v10, v9, v3, v7
	v_fma_f32 v1, v8, v3, v0
	v_fma_f32 v5, -v9, v3, v7
	v_fma_f32 v6, v8, v3, -v0
	s_delay_alu instid0(VALU_DEP_4) | instskip(NEXT) | instid1(VALU_DEP_4)
	v_fma_f32 v0, -v2, v8, v10
	v_fmac_f32_e32 v1, v9, v2
	s_delay_alu instid0(VALU_DEP_3)
	v_dual_fmac_f32 v5, v2, v8 :: v_dual_fmac_f32 v6, v9, v2
	ds_store_b64 v50, v[0:1] offset:12672
	ds_store_b64 v4, v[5:6] offset:14976
	global_wb scope:SCOPE_SE
	s_wait_dscnt 0x0
	s_barrier_signal -1
	s_barrier_wait -1
	global_inv scope:SCOPE_SE
	global_wb scope:SCOPE_SE
	s_barrier_signal -1
	s_barrier_wait -1
	global_inv scope:SCOPE_SE
	ds_load_2addr_b64 v[0:3], v50 offset1:144
	ds_load_2addr_b64 v[4:7], v51 offset1:144
	;; [unrolled: 1-line block ×3, first 2 shown]
	v_add_nc_u32_e32 v37, 0x1000, v50
	v_add_nc_u32_e32 v57, 0x5800, v50
	;; [unrolled: 1-line block ×3, first 2 shown]
	s_wait_dscnt 0x1
	v_add_f32_e32 v48, v0, v4
	s_wait_dscnt 0x0
	v_sub_f32_e32 v72, v5, v9
	v_sub_f32_e32 v80, v7, v11
	ds_load_2addr_b64 v[12:15], v37 offset0:64 offset1:208
	ds_load_2addr_b64 v[16:19], v52 offset0:64 offset1:208
	;; [unrolled: 1-line block ×3, first 2 shown]
	v_add_nc_u32_e32 v55, 0x1800, v50
	v_add_f32_e32 v71, v4, v8
	v_dual_add_f32 v73, v1, v5 :: v_dual_add_f32 v78, v2, v6
	v_dual_sub_f32 v4, v4, v8 :: v_dual_and_b32 v47, 0xffff, v61
	v_add_f32_e32 v8, v48, v8
	s_wait_dscnt 0x1
	v_add_f32_e32 v82, v14, v18
	s_wait_dscnt 0x0
	v_sub_f32_e32 v84, v19, v23
	ds_load_2addr_b64 v[24:27], v54 offset0:32 offset1:176
	ds_load_2addr_b64 v[28:31], v55 offset0:96 offset1:240
	;; [unrolled: 1-line block ×6, first 2 shown]
	v_dual_add_f32 v5, v5, v9 :: v_dual_add_f32 v74, v12, v16
	v_sub_f32_e32 v76, v17, v21
	v_add_f32_e32 v77, v13, v17
	v_add_f32_e32 v17, v17, v21
	;; [unrolled: 1-line block ×5, first 2 shown]
	v_dual_add_f32 v19, v19, v23 :: v_dual_sub_f32 v18, v18, v22
	v_dual_add_f32 v22, v82, v22 :: v_dual_add_f32 v75, v16, v20
	v_dual_sub_f32 v16, v16, v20 :: v_dual_add_f32 v79, v6, v10
	v_dual_add_f32 v7, v7, v11 :: v_dual_sub_f32 v6, v6, v10
	s_wait_dscnt 0x3
	v_add_f32_e32 v48, v26, v34
	v_dual_add_f32 v86, v24, v32 :: v_dual_add_f32 v89, v25, v33
	s_wait_dscnt 0x2
	v_add_f32_e32 v90, v28, v40
	v_add_f32_e32 v82, v27, v35
	s_wait_dscnt 0x1
	v_dual_add_f32 v87, v32, v63 :: v_dual_sub_f32 v88, v33, v64
	v_dual_add_f32 v33, v33, v64 :: v_dual_sub_f32 v32, v32, v63
	v_dual_add_f32 v9, v73, v9 :: v_dual_add_f32 v10, v78, v10
	s_wait_dscnt 0x0
	v_dual_add_f32 v73, v40, v67 :: v_dual_sub_f32 v78, v41, v68
	v_add_f32_e32 v11, v81, v11
	v_dual_add_f32 v81, v29, v41 :: v_dual_add_f32 v20, v74, v20
	v_add_f32_e32 v21, v77, v21
	v_add_f32_e32 v23, v85, v23
	v_sub_f32_e32 v77, v35, v66
	v_dual_add_f32 v35, v35, v66 :: v_dual_sub_f32 v40, v40, v67
	v_add_f32_e32 v85, v30, v42
	v_dual_add_f32 v63, v86, v63 :: v_dual_add_f32 v86, v89, v64
	v_add_f32_e32 v66, v82, v66
	v_add_f32_e32 v82, v42, v69
	;; [unrolled: 1-line block ×3, first 2 shown]
	v_fma_f32 v98, -0.5, v5, v1
	v_fmac_f32_e32 v15, -0.5, v19
	v_fma_f32 v19, -0.5, v83, v14
	v_add_f32_e32 v14, v90, v67
	v_fma_f32 v90, -0.5, v17, v13
	v_add_f32_e32 v74, v34, v65
	v_dual_sub_f32 v34, v34, v65 :: v_dual_add_f32 v41, v41, v68
	v_dual_sub_f32 v42, v42, v69 :: v_dual_add_f32 v67, v81, v68
	v_dual_add_f32 v68, v85, v69 :: v_dual_add_f32 v69, v64, v70
	v_mul_lo_u16 v85, v49, 6
	v_fma_f32 v75, -0.5, v75, v12
	v_fma_f32 v2, -0.5, v79, v2
	;; [unrolled: 1-line block ×4, first 2 shown]
	v_fmac_f32_e32 v27, -0.5, v35
	v_fma_f32 v28, -0.5, v82, v30
	v_dual_fmamk_f32 v30, v4, 0xbf5db3d7, v98 :: v_dual_fmamk_f32 v83, v18, 0xbf5db3d7, v15
	v_fmac_f32_e32 v15, 0x3f5db3d7, v18
	v_mul_u32_u24_e32 v18, 0xaaab, v47
	v_fmamk_f32 v35, v16, 0xbf5db3d7, v90
	v_dual_fmac_f32 v90, 0x3f5db3d7, v16 :: v_dual_sub_f32 v89, v43, v70
	s_delay_alu instid0(VALU_DEP_4)
	v_dual_mul_f32 v94, -0.5, v15 :: v_dual_add_f32 v43, v43, v70
	v_fmamk_f32 v70, v84, 0x3f5db3d7, v19
	v_fmac_f32_e32 v19, 0xbf5db3d7, v84
	v_add_nc_u32_e32 v91, 0x1b00, v45
	v_add_nc_u32_e32 v93, 0x1b20, v45
	v_lshrrev_b32_e32 v64, 18, v18
	v_sub_nc_u16 v18, v36, v85
	v_fmac_f32_e32 v3, -0.5, v7
	v_fma_f32 v71, -0.5, v71, v0
	v_fma_f32 v87, -0.5, v33, v25
	;; [unrolled: 1-line block ×4, first 2 shown]
	v_dual_fmac_f32 v98, 0x3f5db3d7, v4 :: v_dual_fmamk_f32 v33, v76, 0x3f5db3d7, v75
	v_fmac_f32_e32 v75, 0xbf5db3d7, v76
	v_add_f32_e32 v0, v8, v20
	v_sub_f32_e32 v4, v8, v20
	v_sub_f32_e32 v8, v10, v22
	v_dual_mul_f32 v84, -0.5, v19 :: v_dual_add_f32 v65, v48, v65
	v_and_b32_e32 v48, 0xffff, v44
	v_add_nc_u32_e32 v81, 0x3600, v45
	v_dual_sub_f32 v12, v63, v14 :: v_dual_add_nc_u32 v95, 0x3610, v45
	s_delay_alu instid0(VALU_DEP_4)
	v_fmac_f32_e32 v84, 0x3f5db3d7, v15
	v_add_nc_u32_e32 v97, 0x5100, v45
	v_fmac_f32_e32 v31, -0.5, v43
	v_dual_fmamk_f32 v29, v72, 0x3f5db3d7, v71 :: v_dual_sub_f32 v16, v65, v68
	v_fmac_f32_e32 v71, 0xbf5db3d7, v72
	v_dual_add_f32 v1, v9, v21 :: v_dual_fmamk_f32 v72, v88, 0x3f5db3d7, v79
	v_dual_sub_f32 v5, v9, v21 :: v_dual_fmamk_f32 v20, v78, 0x3f5db3d7, v24
	v_dual_fmamk_f32 v43, v6, 0xbf5db3d7, v3 :: v_dual_fmac_f32 v24, 0xbf5db3d7, v78
	v_fmamk_f32 v73, v32, 0xbf5db3d7, v87
	v_dual_fmamk_f32 v21, v40, 0xbf5db3d7, v25 :: v_dual_fmac_f32 v94, 0xbf5db3d7, v19
	v_fmac_f32_e32 v25, 0x3f5db3d7, v40
	v_fmac_f32_e32 v87, 0x3f5db3d7, v32
	v_fmamk_f32 v78, v34, 0xbf5db3d7, v27
	v_fmac_f32_e32 v3, 0x3f5db3d7, v6
	v_add_f32_e32 v6, v10, v22
	v_add_f32_e32 v10, v63, v14
	v_fmamk_f32 v22, v89, 0x3f5db3d7, v28
	v_fmac_f32_e32 v28, 0xbf5db3d7, v89
	v_add_f32_e32 v14, v65, v68
	v_fmamk_f32 v63, v77, 0x3f5db3d7, v26
	v_fmac_f32_e32 v26, 0xbf5db3d7, v77
	v_and_b32_e32 v68, 0xff, v18
	v_dual_mul_f32 v32, -0.5, v75 :: v_dual_fmamk_f32 v41, v80, 0x3f5db3d7, v2
	v_fmac_f32_e32 v2, 0xbf5db3d7, v80
	v_mul_f32_e32 v40, 0x3f5db3d7, v83
	v_dual_add_f32 v7, v11, v23 :: v_dual_add_nc_u32 v76, 0x5110, v45
	s_delay_alu instid0(VALU_DEP_4)
	v_dual_sub_f32 v9, v11, v23 :: v_dual_fmac_f32 v32, 0x3f5db3d7, v90
	v_add_f32_e32 v11, v86, v67
	v_sub_f32_e32 v17, v66, v69
	v_fmamk_f32 v23, v42, 0xbf5db3d7, v31
	v_fmac_f32_e32 v31, 0x3f5db3d7, v42
	v_mul_u32_u24_e32 v42, 5, v68
	v_dual_add_f32 v15, v66, v69 :: v_dual_mul_f32 v66, -0.5, v24
	v_sub_f32_e32 v13, v86, v67
	v_dual_mul_f32 v67, -0.5, v28 :: v_dual_add_nc_u32 v80, 0x5120, v45
	v_dual_fmac_f32 v79, 0xbf5db3d7, v88 :: v_dual_fmac_f32 v40, 0.5, v70
	v_mul_f32_e32 v77, -0.5, v31
	s_delay_alu instid0(VALU_DEP_3)
	v_fmac_f32_e32 v67, 0x3f5db3d7, v31
	v_mul_f32_e32 v31, 0x3f5db3d7, v35
	v_mul_lo_u16 v85, v64, 6
	v_dual_mul_f32 v65, 0x3f5db3d7, v21 :: v_dual_lshlrev_b32 v82, 3, v42
	global_wb scope:SCOPE_SE
	v_fmac_f32_e32 v31, 0.5, v33
	v_fmac_f32_e32 v27, 0x3f5db3d7, v34
	v_mul_f32_e32 v34, 0xbf5db3d7, v33
	v_sub_nc_u16 v18, v61, v85
	v_fmac_f32_e32 v65, 0.5, v20
	v_mul_f32_e32 v33, -0.5, v90
	s_barrier_signal -1
	v_dual_fmac_f32 v34, 0.5, v35 :: v_dual_mul_f32 v35, 0xbf5db3d7, v70
	s_delay_alu instid0(VALU_DEP_3) | instskip(SKIP_2) | instid1(VALU_DEP_4)
	v_sub_f32_e32 v42, v72, v65
	v_mul_f32_e32 v70, 0xbf5db3d7, v20
	v_dual_add_f32 v18, v29, v31 :: v_dual_and_b32 v69, 0xffff, v18
	v_add_f32_e32 v19, v30, v34
	s_delay_alu instid0(VALU_DEP_3) | instskip(SKIP_4) | instid1(VALU_DEP_4)
	v_dual_fmac_f32 v35, 0.5, v83 :: v_dual_fmac_f32 v70, 0.5, v21
	v_mul_f32_e32 v74, -0.5, v25
	v_dual_fmac_f32 v66, 0x3f5db3d7, v25 :: v_dual_sub_f32 v21, v30, v34
	v_dual_add_f32 v34, v72, v65 :: v_dual_fmac_f32 v33, 0xbf5db3d7, v75
	v_mul_f32_e32 v75, 0x3f5db3d7, v23
	v_fmac_f32_e32 v74, 0xbf5db3d7, v24
	v_sub_f32_e32 v30, v41, v40
	v_fmac_f32_e32 v77, 0xbf5db3d7, v28
	s_delay_alu instid0(VALU_DEP_4)
	v_dual_add_f32 v28, v41, v40 :: v_dual_fmac_f32 v75, 0.5, v22
	v_add_f32_e32 v72, v26, v67
	v_dual_sub_f32 v26, v26, v67 :: v_dual_mul_f32 v85, 0xbf5db3d7, v22
	v_add_f32_e32 v22, v71, v32
	v_sub_f32_e32 v24, v71, v32
	v_add_f32_e32 v32, v2, v84
	v_sub_f32_e32 v2, v2, v84
	v_sub_f32_e32 v20, v29, v31
	v_add_f32_e32 v29, v43, v35
	v_sub_f32_e32 v31, v43, v35
	v_add_f32_e32 v40, v79, v66
	v_add_f32_e32 v35, v73, v70
	v_add_f32_e32 v41, v87, v74
	v_sub_f32_e32 v65, v79, v66
	v_sub_f32_e32 v43, v73, v70
	;; [unrolled: 1-line block ×3, first 2 shown]
	v_add_f32_e32 v70, v63, v75
	v_mul_u32_u24_e32 v83, 5, v69
	v_sub_f32_e32 v74, v63, v75
	v_dual_fmac_f32 v85, 0.5, v23 :: v_dual_lshlrev_b32 v88, 3, v68
	v_add_f32_e32 v23, v98, v33
	v_sub_f32_e32 v25, v98, v33
	v_add_f32_e32 v33, v3, v94
	s_barrier_wait -1
	global_inv scope:SCOPE_SE
	v_sub_f32_e32 v3, v3, v94
	v_add_f32_e32 v71, v78, v85
	v_add_f32_e32 v73, v27, v77
	v_sub_f32_e32 v75, v78, v85
	v_sub_f32_e32 v27, v27, v77
	ds_store_2addr_b64 v45, v[0:1], v[18:19] offset1:1
	ds_store_2addr_b64 v45, v[22:23], v[4:5] offset0:2 offset1:3
	ds_store_2addr_b64 v45, v[20:21], v[24:25] offset0:4 offset1:5
	ds_store_2addr_b64 v91, v[6:7], v[28:29] offset1:1
	ds_store_2addr_b64 v92, v[32:33], v[8:9] offset1:1
	;; [unrolled: 1-line block ×9, first 2 shown]
	global_wb scope:SCOPE_SE
	s_wait_dscnt 0x0
	s_barrier_signal -1
	s_barrier_wait -1
	global_inv scope:SCOPE_SE
	global_load_b128 v[8:11], v82, s[4:5]
	v_mul_u32_u24_e32 v0, 0xaaab, v48
	v_lshlrev_b32_e32 v1, 3, v83
	v_and_b32_e32 v45, 0xffff, v62
	global_load_b128 v[24:27], v82, s[4:5] offset:16
	v_lshrrev_b16 v63, 11, v46
	v_lshrrev_b32_e32 v80, 18, v0
	s_clause 0x1
	global_load_b128 v[28:31], v1, s[4:5]
	global_load_b128 v[20:23], v1, s[4:5] offset:16
	v_mul_u32_u24_e32 v0, 0xaaab, v45
	v_mul_u32_u24_e32 v46, 0xe38f, v47
	v_mul_lo_u16 v2, v80, 6
	v_mul_lo_u16 v47, v63, 36
	v_mul_u32_u24_e32 v48, 0xe38f, v48
	v_lshrrev_b32_e32 v81, 18, v0
	v_lshrrev_b32_e32 v66, 21, v46
	v_sub_nc_u16 v0, v44, v2
	v_sub_nc_u16 v46, v36, v47
	v_lshrrev_b32_e32 v67, 21, v48
	v_mul_lo_u16 v2, v81, 6
	v_mul_lo_u16 v47, v66, 36
	v_and_b32_e32 v70, 0xffff, v0
	v_mul_u32_u24_e32 v85, 0x120, v80
	v_mul_u32_u24_e32 v86, 0x120, v81
	v_sub_nc_u16 v0, v62, v2
	v_sub_nc_u16 v87, v61, v47
	v_mul_u32_u24_e32 v2, 5, v70
	v_mul_u32_u24_e32 v64, 0x120, v64
	s_delay_alu instid0(VALU_DEP_4) | instskip(NEXT) | instid1(VALU_DEP_4)
	v_and_b32_e32 v71, 0xffff, v0
	v_and_b32_e32 v68, 0xffff, v87
	s_delay_alu instid0(VALU_DEP_4) | instskip(NEXT) | instid1(VALU_DEP_3)
	v_lshlrev_b32_e32 v32, 3, v2
	v_mul_u32_u24_e32 v0, 5, v71
	global_load_b128 v[16:19], v32, s[4:5]
	v_lshlrev_b32_e32 v33, 3, v0
	s_clause 0x6
	global_load_b128 v[12:15], v33, s[4:5]
	global_load_b64 v[42:43], v82, s[4:5] offset:32
	global_load_b64 v[40:41], v1, s[4:5] offset:32
	global_load_b128 v[4:7], v32, s[4:5] offset:16
	global_load_b128 v[0:3], v33, s[4:5] offset:16
	global_load_b64 v[34:35], v32, s[4:5] offset:32
	global_load_b64 v[32:33], v33, s[4:5] offset:32
	ds_load_2addr_b64 v[72:75], v37 offset0:64 offset1:208
	ds_load_2addr_b64 v[76:79], v51 offset1:144
	v_and_b32_e32 v49, 0xffff, v49
	v_and_b32_e32 v65, 0xff, v46
	s_delay_alu instid0(VALU_DEP_2)
	v_mul_u32_u24_e32 v84, 0x120, v49
	ds_load_2addr_b64 v[46:49], v52 offset0:64 offset1:208
	ds_load_2addr_b64 v[80:83], v53 offset1:144
	s_wait_loadcnt_dscnt 0xb03
	v_mul_f32_e32 v90, v9, v73
	v_mul_f32_e32 v91, v9, v72
	s_wait_dscnt 0x2
	v_mul_f32_e32 v9, v11, v77
	v_mul_f32_e32 v92, v11, v76
	v_fma_f32 v72, v8, v72, -v90
	v_fmac_f32_e32 v91, v8, v73
	s_delay_alu instid0(VALU_DEP_4)
	v_fma_f32 v73, v10, v76, -v9
	s_wait_loadcnt 0x9
	v_mul_f32_e32 v8, v75, v29
	v_dual_mul_f32 v76, v74, v29 :: v_dual_mul_f32 v29, v79, v31
	v_fmac_f32_e32 v92, v10, v77
	v_add3_u32 v77, 0, v84, v88
	v_mul_f32_e32 v84, v78, v31
	s_delay_alu instid0(VALU_DEP_4)
	v_fmac_f32_e32 v76, v75, v28
	v_fma_f32 v75, v78, v30, -v29
	s_wait_dscnt 0x1
	v_mul_f32_e32 v78, v47, v25
	v_fma_f32 v74, v74, v28, -v8
	ds_load_2addr_b64 v[8:11], v55 offset0:96 offset1:240
	v_fmac_f32_e32 v84, v79, v30
	ds_load_2addr_b64 v[28:31], v56 offset0:32 offset1:176
	v_mul_f32_e32 v79, v46, v25
	v_fma_f32 v46, v46, v24, -v78
	s_wait_dscnt 0x2
	v_mul_f32_e32 v25, v81, v27
	v_mul_f32_e32 v27, v80, v27
	s_wait_loadcnt 0x8
	v_dual_mul_f32 v78, v48, v21 :: v_dual_fmac_f32 v79, v47, v24
	s_delay_alu instid0(VALU_DEP_3) | instskip(NEXT) | instid1(VALU_DEP_3)
	v_fma_f32 v47, v80, v26, -v25
	v_fmac_f32_e32 v27, v81, v26
	v_mul_f32_e32 v87, v49, v21
	v_lshlrev_b32_e32 v21, 3, v69
	v_mul_f32_e32 v69, v83, v23
	v_mul_f32_e32 v80, v82, v23
	ds_load_2addr_b64 v[23:26], v57 offset0:64 offset1:208
	v_fma_f32 v48, v48, v20, -v87
	v_fmac_f32_e32 v78, v49, v20
	v_fma_f32 v49, v82, v22, -v69
	s_wait_loadcnt_dscnt 0x702
	v_mul_f32_e32 v20, v9, v17
	v_dual_fmac_f32 v80, v83, v22 :: v_dual_mul_f32 v69, v8, v17
	s_wait_dscnt 0x1
	v_mul_f32_e32 v17, v29, v19
	s_wait_loadcnt 0x6
	v_dual_mul_f32 v81, v28, v19 :: v_dual_mul_f32 v22, v11, v13
	v_mul_f32_e32 v82, v10, v13
	v_add3_u32 v64, 0, v64, v21
	v_mul_f32_e32 v21, v31, v15
	v_fma_f32 v28, v28, v18, -v17
	v_fmac_f32_e32 v81, v29, v18
	v_fma_f32 v29, v10, v12, -v22
	v_fmac_f32_e32 v82, v11, v12
	v_lshlrev_b32_e32 v12, 3, v70
	v_mul_f32_e32 v70, v30, v15
	v_fma_f32 v30, v30, v14, -v21
	s_wait_loadcnt_dscnt 0x400
	v_mul_f32_e32 v21, v26, v41
	v_fma_f32 v83, v8, v16, -v20
	v_mul_f32_e32 v41, v25, v41
	v_mul_u32_u24_e32 v20, 5, v68
	v_fmac_f32_e32 v70, v31, v14
	v_fma_f32 v25, v25, v40, -v21
	v_fmac_f32_e32 v69, v9, v16
	ds_load_2addr_b64 v[8:11], v60 offset0:32 offset1:176
	v_dual_mul_f32 v31, v23, v43 :: v_dual_lshlrev_b32 v88, 3, v20
	v_mul_f32_e32 v20, v24, v43
	ds_load_2addr_b64 v[16:19], v58 offset0:96 offset1:240
	v_lshlrev_b32_e32 v13, 3, v71
	v_fmac_f32_e32 v31, v24, v42
	v_add3_u32 v85, 0, v85, v12
	v_dual_add_f32 v90, v48, v25 :: v_dual_fmac_f32 v41, v26, v40
	s_delay_alu instid0(VALU_DEP_4)
	v_add3_u32 v86, 0, v86, v13
	ds_load_2addr_b64 v[12:15], v59 offset0:96 offset1:240
	v_add_f32_e32 v26, v72, v46
	s_wait_loadcnt_dscnt 0x302
	v_mul_f32_e32 v24, v8, v7
	v_mul_u32_u24_e32 v89, 5, v65
	s_wait_dscnt 0x1
	v_mul_f32_e32 v43, v17, v5
	v_mul_f32_e32 v71, v16, v5
	s_delay_alu instid0(VALU_DEP_3)
	v_lshlrev_b32_e32 v87, 3, v89
	v_fma_f32 v89, v23, v42, -v20
	ds_load_2addr_b64 v[20:23], v50 offset1:144
	v_fmac_f32_e32 v24, v9, v6
	v_fma_f32 v16, v16, v4, -v43
	v_sub_f32_e32 v40, v46, v89
	v_add_f32_e32 v26, v26, v89
	s_wait_dscnt 0x0
	v_add_f32_e32 v42, v22, v75
	v_mul_f32_e32 v5, v9, v7
	s_wait_loadcnt 0x2
	v_mul_f32_e32 v9, v19, v1
	v_mul_f32_e32 v1, v18, v1
	v_add_f32_e32 v42, v42, v49
	v_fma_f32 v8, v8, v6, -v5
	s_delay_alu instid0(VALU_DEP_4) | instskip(SKIP_2) | instid1(VALU_DEP_2)
	v_fma_f32 v9, v18, v0, -v9
	v_mul_f32_e32 v18, v11, v3
	v_mul_f32_e32 v3, v10, v3
	v_fma_f32 v10, v10, v2, -v18
	s_delay_alu instid0(VALU_DEP_2)
	v_fmac_f32_e32 v3, v11, v2
	s_wait_loadcnt 0x1
	v_dual_fmac_f32 v1, v19, v0 :: v_dual_mul_f32 v0, v12, v35
	s_wait_loadcnt 0x0
	v_mul_f32_e32 v19, v15, v33
	v_fmac_f32_e32 v71, v17, v4
	ds_load_2addr_b64 v[4:7], v54 offset0:32 offset1:176
	v_mul_f32_e32 v17, v13, v35
	v_fmac_f32_e32 v0, v13, v34
	v_fma_f32 v2, v14, v32, -v19
	v_dual_mul_f32 v13, v14, v33 :: v_dual_add_f32 v14, v73, v47
	s_delay_alu instid0(VALU_DEP_4) | instskip(SKIP_1) | instid1(VALU_DEP_3)
	v_fma_f32 v12, v12, v34, -v17
	v_add_f32_e32 v34, v91, v79
	v_dual_add_f32 v18, v92, v27 :: v_dual_fmac_f32 v13, v15, v32
	v_add_f32_e32 v32, v46, v89
	v_fma_f32 v94, -0.5, v14, v20
	v_dual_add_f32 v43, v75, v49 :: v_dual_sub_f32 v46, v84, v80
	v_add_f32_e32 v17, v21, v92
	s_delay_alu instid0(VALU_DEP_4) | instskip(NEXT) | instid1(VALU_DEP_3)
	v_dual_fmac_f32 v72, -0.5, v32 :: v_dual_sub_f32 v19, v73, v47
	v_fma_f32 v22, -0.5, v43, v22
	v_sub_f32_e32 v33, v79, v31
	v_add_f32_e32 v35, v79, v31
	v_fma_f32 v95, -0.5, v18, v21
	v_add_f32_e32 v79, v84, v80
	global_wb scope:SCOPE_SE
	s_wait_dscnt 0x0
	s_barrier_signal -1
	v_fmac_f32_e32 v91, -0.5, v35
	v_add_f32_e32 v35, v83, v16
	v_add_f32_e32 v11, v20, v73
	;; [unrolled: 1-line block ×4, first 2 shown]
	v_fmac_f32_e32 v74, -0.5, v90
	v_add_f32_e32 v90, v30, v10
	v_dual_sub_f32 v48, v48, v25 :: v_dual_fmac_f32 v23, -0.5, v79
	v_add_f32_e32 v79, v69, v71
	v_dual_sub_f32 v15, v92, v27 :: v_dual_sub_f32 v92, v78, v41
	v_sub_f32_e32 v75, v75, v49
	v_dual_add_f32 v25, v84, v25 :: v_dual_add_f32 v84, v6, v30
	v_fma_f32 v6, -0.5, v90, v6
	v_add_f32_e32 v49, v16, v12
	v_sub_f32_e32 v16, v16, v12
	v_add_f32_e32 v12, v35, v12
	v_add_f32_e32 v11, v11, v47
	;; [unrolled: 1-line block ×5, first 2 shown]
	v_dual_sub_f32 v30, v30, v10 :: v_dual_add_f32 v89, v28, v8
	v_sub_f32_e32 v28, v28, v8
	s_delay_alu instid0(VALU_DEP_4) | instskip(SKIP_1) | instid1(VALU_DEP_4)
	v_dual_add_f32 v27, v27, v8 :: v_dual_add_f32 v8, v29, v9
	v_dual_fmac_f32 v83, -0.5, v49 :: v_dual_add_f32 v14, v79, v0
	v_fma_f32 v43, -0.5, v89, v4
	s_delay_alu instid0(VALU_DEP_3)
	v_add_f32_e32 v10, v27, v12
	v_dual_sub_f32 v12, v27, v12 :: v_dual_add_f32 v47, v76, v78
	v_add_f32_e32 v78, v78, v41
	v_sub_f32_e32 v32, v81, v24
	s_barrier_wait -1
	global_inv scope:SCOPE_SE
	v_add_f32_e32 v41, v47, v41
	v_dual_sub_f32 v47, v70, v3 :: v_dual_fmac_f32 v76, -0.5, v78
	v_dual_add_f32 v31, v34, v31 :: v_dual_add_f32 v34, v5, v81
	v_add_f32_e32 v78, v7, v70
	v_dual_add_f32 v70, v70, v3 :: v_dual_sub_f32 v35, v1, v13
	v_add_f32_e32 v49, v82, v1
	v_add_f32_e32 v1, v1, v13
	;; [unrolled: 1-line block ×5, first 2 shown]
	s_delay_alu instid0(VALU_DEP_4)
	v_dual_fmac_f32 v7, -0.5, v70 :: v_dual_fmac_f32 v82, -0.5, v1
	v_fmamk_f32 v70, v19, 0xbf5db3d7, v95
	v_fmac_f32_e32 v95, 0x3f5db3d7, v19
	v_fmamk_f32 v19, v33, 0x3f5db3d7, v72
	v_dual_fmac_f32 v72, 0xbf5db3d7, v33 :: v_dual_fmamk_f32 v33, v40, 0xbf5db3d7, v91
	v_add_f32_e32 v21, v8, v2
	v_sub_f32_e32 v93, v9, v2
	v_dual_fmac_f32 v91, 0x3f5db3d7, v40 :: v_dual_sub_f32 v2, v11, v26
	v_fmamk_f32 v40, v46, 0x3f5db3d7, v22
	v_fmac_f32_e32 v22, 0xbf5db3d7, v46
	s_delay_alu instid0(VALU_DEP_4)
	v_fmamk_f32 v27, v93, 0xbf5db3d7, v82
	v_dual_fmac_f32 v29, -0.5, v34 :: v_dual_add_f32 v34, v49, v13
	v_dual_add_f32 v20, v78, v3 :: v_dual_fmamk_f32 v49, v15, 0x3f5db3d7, v94
	v_fmac_f32_e32 v94, 0xbf5db3d7, v15
	v_sub_f32_e32 v8, v42, v25
	v_fma_f32 v81, -0.5, v81, v5
	v_add_f32_e32 v73, v73, v80
	v_sub_f32_e32 v80, v71, v0
	v_dual_add_f32 v71, v71, v0 :: v_dual_fmac_f32 v82, 0x3f5db3d7, v93
	v_dual_add_f32 v0, v11, v26 :: v_dual_sub_f32 v3, v17, v31
	v_fmamk_f32 v26, v92, 0x3f5db3d7, v74
	v_dual_fmac_f32 v74, 0xbf5db3d7, v92 :: v_dual_add_f32 v1, v17, v31
	v_add_f32_e32 v11, v24, v14
	v_sub_f32_e32 v13, v24, v14
	v_add_f32_e32 v15, v20, v34
	v_dual_sub_f32 v17, v20, v34 :: v_dual_mul_f32 v34, 0xbf5db3d7, v19
	v_fmamk_f32 v24, v35, 0x3f5db3d7, v29
	v_dual_fmac_f32 v29, 0xbf5db3d7, v35 :: v_dual_add_f32 v4, v42, v25
	v_fmamk_f32 v42, v32, 0x3f5db3d7, v43
	v_fmamk_f32 v46, v75, 0xbf5db3d7, v23
	s_delay_alu instid0(VALU_DEP_3) | instskip(SKIP_2) | instid1(VALU_DEP_3)
	v_dual_mul_f32 v90, -0.5, v29 :: v_dual_fmac_f32 v43, 0xbf5db3d7, v32
	v_dual_mul_f32 v32, -0.5, v72 :: v_dual_fmamk_f32 v31, v48, 0xbf5db3d7, v76
	v_fmac_f32_e32 v76, 0x3f5db3d7, v48
	v_dual_fmac_f32 v90, 0x3f5db3d7, v82 :: v_dual_mul_f32 v35, -0.5, v91
	v_dual_fmamk_f32 v48, v28, 0xbf5db3d7, v81 :: v_dual_add_f32 v5, v73, v41
	s_delay_alu instid0(VALU_DEP_4) | instskip(NEXT) | instid1(VALU_DEP_3)
	v_dual_fmac_f32 v32, 0x3f5db3d7, v91 :: v_dual_sub_f32 v9, v73, v41
	v_fmac_f32_e32 v35, 0xbf5db3d7, v72
	v_mul_f32_e32 v72, 0x3f5db3d7, v27
	v_fmac_f32_e32 v23, 0x3f5db3d7, v75
	v_dual_fmamk_f32 v73, v30, 0xbf5db3d7, v7 :: v_dual_mul_f32 v78, -0.5, v76
	s_delay_alu instid0(VALU_DEP_3) | instskip(SKIP_1) | instid1(VALU_DEP_2)
	v_dual_fmamk_f32 v25, v80, 0x3f5db3d7, v83 :: v_dual_fmac_f32 v72, 0.5, v24
	v_dual_fmac_f32 v7, 0x3f5db3d7, v30 :: v_dual_mul_f32 v30, 0x3f5db3d7, v33
	v_dual_fmac_f32 v69, -0.5, v71 :: v_dual_mul_f32 v84, 0xbf5db3d7, v25
	v_fmamk_f32 v71, v47, 0x3f5db3d7, v6
	v_dual_fmac_f32 v6, 0xbf5db3d7, v47 :: v_dual_mul_f32 v47, -0.5, v74
	v_add_f32_e32 v20, v94, v32
	v_dual_fmac_f32 v30, 0.5, v19 :: v_dual_fmac_f32 v81, 0x3f5db3d7, v28
	v_fmamk_f32 v28, v16, 0xbf5db3d7, v69
	s_delay_alu instid0(VALU_DEP_4)
	v_fmac_f32_e32 v47, 0x3f5db3d7, v76
	v_fmac_f32_e32 v69, 0x3f5db3d7, v16
	v_mul_f32_e32 v76, 0xbf5db3d7, v24
	v_fmac_f32_e32 v34, 0.5, v33
	v_add_f32_e32 v14, v18, v21
	v_sub_f32_e32 v16, v18, v21
	v_dual_add_f32 v18, v49, v30 :: v_dual_mul_f32 v41, 0x3f5db3d7, v31
	v_mul_f32_e32 v75, 0xbf5db3d7, v26
	v_mul_f32_e32 v79, 0x3f5db3d7, v28
	v_mul_f32_e32 v91, -0.5, v82
	v_sub_f32_e32 v24, v49, v30
	v_fmac_f32_e32 v41, 0.5, v26
	v_fmac_f32_e32 v83, 0xbf5db3d7, v80
	v_sub_f32_e32 v26, v94, v32
	v_add_f32_e32 v30, v22, v47
	v_sub_f32_e32 v22, v22, v47
	v_sub_f32_e32 v32, v40, v41
	v_dual_mul_f32 v80, -0.5, v83 :: v_dual_mul_f32 v89, -0.5, v69
	v_dual_fmac_f32 v75, 0.5, v31 :: v_dual_add_nc_u32 v82, 0x4c00, v50
	v_dual_fmac_f32 v78, 0xbf5db3d7, v74 :: v_dual_fmac_f32 v79, 0.5, v25
	s_delay_alu instid0(VALU_DEP_3) | instskip(NEXT) | instid1(VALU_DEP_4)
	v_fmac_f32_e32 v80, 0x3f5db3d7, v69
	v_dual_fmac_f32 v84, 0.5, v28 :: v_dual_fmac_f32 v89, 0xbf5db3d7, v83
	v_dual_fmac_f32 v76, 0.5, v27 :: v_dual_add_f32 v19, v70, v34
	v_add_f32_e32 v69, v6, v90
	v_dual_sub_f32 v6, v6, v90 :: v_dual_fmac_f32 v91, 0xbf5db3d7, v29
	v_add_f32_e32 v21, v95, v35
	v_sub_f32_e32 v25, v70, v34
	v_dual_sub_f32 v27, v95, v35 :: v_dual_add_f32 v28, v40, v41
	v_add_f32_e32 v29, v46, v75
	v_add_f32_e32 v31, v23, v78
	v_sub_f32_e32 v23, v23, v78
	v_sub_f32_e32 v33, v46, v75
	v_add_f32_e32 v34, v42, v79
	v_add_f32_e32 v40, v43, v80
	;; [unrolled: 1-line block ×3, first 2 shown]
	v_dual_add_f32 v41, v81, v89 :: v_dual_sub_f32 v42, v42, v79
	v_sub_f32_e32 v46, v43, v80
	v_sub_f32_e32 v43, v48, v84
	v_dual_sub_f32 v47, v81, v89 :: v_dual_add_f32 v48, v71, v72
	v_dual_add_f32 v49, v73, v76 :: v_dual_add_f32 v70, v7, v91
	v_sub_f32_e32 v71, v71, v72
	v_dual_sub_f32 v72, v73, v76 :: v_dual_sub_f32 v7, v7, v91
	ds_store_2addr_b64 v77, v[0:1], v[18:19] offset1:6
	ds_store_2addr_b64 v77, v[20:21], v[2:3] offset0:12 offset1:18
	ds_store_2addr_b64 v77, v[24:25], v[26:27] offset0:24 offset1:30
	ds_store_2addr_b64 v64, v[4:5], v[28:29] offset1:6
	ds_store_2addr_b64 v64, v[30:31], v[8:9] offset0:12 offset1:18
	ds_store_2addr_b64 v64, v[32:33], v[22:23] offset0:24 offset1:30
	;; [unrolled: 3-line block ×4, first 2 shown]
	global_wb scope:SCOPE_SE
	s_wait_dscnt 0x0
	s_barrier_signal -1
	s_barrier_wait -1
	global_inv scope:SCOPE_SE
	s_clause 0x1
	global_load_b128 v[20:23], v87, s[4:5] offset:240
	global_load_b128 v[12:15], v88, s[4:5] offset:240
	v_mul_lo_u16 v0, v67, 36
	v_mul_u32_u24_e32 v1, 0xe38f, v45
	v_add_nc_u32_e32 v40, 0xffffffb8, v36
	v_lshrrev_b16 v78, 3, v62
	v_add_nc_u32_e32 v72, 0x5400, v50
	v_sub_nc_u16 v0, v44, v0
	v_lshrrev_b32_e32 v73, 21, v1
	s_wait_alu 0xf1ff
	v_cndmask_b32_e64 v69, v40, v61, s0
	v_and_b32_e32 v85, 0xffff, v78
	v_add_nc_u16 v84, v36, 0x240
	v_and_b32_e32 v70, 0xffff, v0
	v_mul_lo_u16 v1, v73, 36
	v_mul_i32_i24_e32 v40, 3, v69
	v_mul_u32_u24_e32 v64, 3, v36
	s_delay_alu instid0(VALU_DEP_4) | instskip(NEXT) | instid1(VALU_DEP_4)
	v_mul_u32_u24_e32 v0, 5, v70
	v_sub_nc_u16 v1, v62, v1
	s_delay_alu instid0(VALU_DEP_3) | instskip(NEXT) | instid1(VALU_DEP_3)
	v_lshlrev_b32_e32 v64, 3, v64
	v_lshlrev_b32_e32 v0, 3, v0
	s_delay_alu instid0(VALU_DEP_3) | instskip(SKIP_2) | instid1(VALU_DEP_1)
	v_and_b32_e32 v71, 0xffff, v1
	global_load_b128 v[28:31], v0, s[4:5] offset:240
	v_mul_u32_u24_e32 v1, 5, v71
	v_lshlrev_b32_e32 v32, 3, v1
	s_clause 0x8
	global_load_b128 v[24:27], v32, s[4:5] offset:240
	global_load_b128 v[16:19], v87, s[4:5] offset:256
	global_load_b64 v[48:49], v88, s[4:5] offset:272
	global_load_b64 v[46:47], v0, s[4:5] offset:272
	global_load_b128 v[8:11], v88, s[4:5] offset:256
	global_load_b128 v[4:7], v0, s[4:5] offset:256
	global_load_b64 v[44:45], v87, s[4:5] offset:272
	global_load_b128 v[0:3], v32, s[4:5] offset:256
	global_load_b64 v[42:43], v32, s[4:5] offset:272
	ds_load_2addr_b64 v[74:77], v37 offset0:64 offset1:208
	ds_load_2addr_b64 v[32:35], v51 offset1:144
	ds_load_2addr_b64 v[78:81], v55 offset0:96 offset1:240
	s_wait_loadcnt_dscnt 0xb02
	v_mul_f32_e32 v86, v21, v75
	v_mul_f32_e32 v87, v21, v74
	s_wait_dscnt 0x1
	v_mul_f32_e32 v21, v23, v33
	s_wait_loadcnt 0xa
	v_dual_mul_f32 v91, v34, v15 :: v_dual_mul_f32 v88, v23, v32
	v_fma_f32 v86, v20, v74, -v86
	v_fmac_f32_e32 v87, v20, v75
	v_fma_f32 v75, v22, v32, -v21
	v_mov_b32_e32 v41, 0
	v_fmac_f32_e32 v91, v35, v14
	v_mul_f32_e32 v23, v77, v13
	v_fmac_f32_e32 v88, v22, v33
	v_mul_f32_e32 v89, v76, v13
	v_lshlrev_b64_e32 v[32:33], 3, v[40:41]
	v_add_nc_u32_e32 v83, 0x5c00, v50
	v_fma_f32 v40, v76, v12, -v23
	ds_load_2addr_b64 v[20:23], v56 offset0:32 offset1:176
	v_fmac_f32_e32 v89, v77, v12
	v_mul_u32_u24_e32 v12, 0x12f7, v85
	v_mul_u32_u24_e32 v76, 0x6c0, v66
	v_add_co_u32 v66, s0, s4, v32
	v_mul_u32_u24_e32 v77, 0x6c0, v67
	s_delay_alu instid0(VALU_DEP_4)
	v_lshrrev_b32_e32 v12, 17, v12
	s_wait_alu 0xf1ff
	v_add_co_ci_u32_e64 v67, s0, s5, v33, s0
	v_lshlrev_b32_e32 v32, 3, v65
	s_wait_loadcnt_dscnt 0x901
	v_mul_f32_e32 v92, v78, v29
	v_mul_lo_u16 v90, 0xd8, v12
	v_dual_mul_f32 v12, v35, v15 :: v_dual_lshlrev_b32 v33, 3, v68
	v_mul_f32_e32 v65, v79, v29
	s_delay_alu instid0(VALU_DEP_4) | instskip(SKIP_1) | instid1(VALU_DEP_4)
	v_fmac_f32_e32 v92, v79, v28
	v_mul_u32_u24_e32 v85, 0x6c0, v73
	v_fma_f32 v68, v34, v14, -v12
	ds_load_2addr_b64 v[12:15], v52 offset0:64 offset1:208
	s_wait_dscnt 0x1
	v_mul_f32_e32 v93, v20, v31
	v_fma_f32 v65, v78, v28, -v65
	v_add3_u32 v76, 0, v76, v33
	ds_load_2addr_b32 v[73:74], v53 offset1:1
	v_cmp_lt_u32_e64 s0, 0x47, v36
	v_fmac_f32_e32 v93, v21, v30
	v_mul_f32_e32 v29, v21, v31
	v_lshlrev_b32_e32 v21, 3, v71
	s_delay_alu instid0(VALU_DEP_2)
	v_fma_f32 v78, v20, v30, -v29
	ds_load_2addr_b64 v[28:31], v83 offset0:80 offset1:224
	v_lshlrev_b32_e32 v20, 3, v70
	s_wait_loadcnt 0x8
	v_mul_f32_e32 v70, v80, v25
	v_add3_u32 v79, 0, v85, v21
	v_mul_f32_e32 v21, v23, v27
	v_add3_u32 v77, 0, v77, v20
	v_mul_f32_e32 v20, v81, v25
	v_fmac_f32_e32 v70, v81, v24
	s_wait_loadcnt_dscnt 0x702
	v_mul_f32_e32 v81, v17, v12
	s_delay_alu instid0(VALU_DEP_3) | instskip(SKIP_1) | instid1(VALU_DEP_1)
	v_fma_f32 v80, v80, v24, -v20
	v_mul_f32_e32 v24, v17, v13
	v_fma_f32 v83, v16, v12, -v24
	s_wait_loadcnt_dscnt 0x500
	v_mul_f32_e32 v12, v31, v47
	v_mul_f32_e32 v47, v30, v47
	s_delay_alu instid0(VALU_DEP_2)
	v_fma_f32 v30, v30, v46, -v12
	v_fmac_f32_e32 v81, v16, v13
	v_and_b32_e32 v63, 0xffff, v63
	s_wait_loadcnt 0x4
	v_mul_f32_e32 v13, v15, v9
	v_fmac_f32_e32 v47, v31, v46
	s_delay_alu instid0(VALU_DEP_3) | instskip(NEXT) | instid1(VALU_DEP_3)
	v_mul_u32_u24_e32 v63, 0x6c0, v63
	v_fma_f32 v46, v14, v8, -v13
	s_delay_alu instid0(VALU_DEP_2)
	v_add3_u32 v63, 0, v63, v32
	ds_load_2addr_b64 v[32:35], v72 offset0:48 offset1:192
	v_fma_f32 v72, v22, v26, -v21
	v_mul_f32_e32 v25, v29, v49
	v_mul_f32_e32 v49, v28, v49
	;; [unrolled: 1-line block ×3, first 2 shown]
	s_delay_alu instid0(VALU_DEP_3) | instskip(SKIP_1) | instid1(VALU_DEP_4)
	v_fma_f32 v28, v28, v48, -v25
	v_mul_f32_e32 v71, v22, v27
	v_fmac_f32_e32 v49, v29, v48
	v_mul_f32_e32 v29, v14, v9
	s_delay_alu instid0(VALU_DEP_3)
	v_fmac_f32_e32 v71, v23, v26
	ds_load_2addr_b64 v[20:23], v82 offset0:16 offset1:160
	v_mul_f32_e32 v82, v19, v73
	v_fma_f32 v73, v18, v73, -v17
	ds_load_2addr_b64 v[24:27], v50 offset1:144
	v_dual_fmac_f32 v29, v15, v8 :: v_dual_fmac_f32 v82, v74, v18
	ds_load_2addr_b64 v[16:19], v58 offset0:96 offset1:240
	s_wait_dscnt 0x2
	v_mul_f32_e32 v9, v21, v11
	v_mul_f32_e32 v31, v20, v11
	ds_load_2addr_b64 v[11:14], v54 offset0:32 offset1:176
	v_fma_f32 v15, v20, v10, -v9
	ds_load_b64 v[8:9], v50 offset:26496
	s_wait_loadcnt 0x3
	v_dual_fmac_f32 v31, v21, v10 :: v_dual_mul_f32 v10, v23, v7
	s_wait_loadcnt 0x2
	v_dual_mul_f32 v7, v22, v7 :: v_dual_mul_f32 v20, v35, v45
	v_mul_f32_e32 v21, v34, v45
	global_wb scope:SCOPE_SE
	s_wait_loadcnt_dscnt 0x0
	v_fma_f32 v10, v22, v6, -v10
	v_dual_fmac_f32 v7, v23, v6 :: v_dual_mul_f32 v6, v17, v5
	v_mul_f32_e32 v5, v16, v5
	v_fmac_f32_e32 v21, v35, v44
	s_barrier_signal -1
	s_barrier_wait -1
	v_fma_f32 v6, v16, v4, -v6
	v_fmac_f32_e32 v5, v17, v4
	v_fma_f32 v17, v34, v44, -v20
	v_add_f32_e32 v44, v68, v15
	v_mul_f32_e32 v4, v19, v1
	v_mul_f32_e32 v16, v33, v3
	v_mul_f32_e32 v20, v9, v43
	v_dual_mul_f32 v22, v8, v43 :: v_dual_add_f32 v43, v26, v68
	v_sub_f32_e32 v68, v68, v15
	v_fma_f32 v44, -0.5, v44, v26
	v_mul_f32_e32 v3, v32, v3
	v_fma_f32 v4, v18, v0, -v4
	v_add_f32_e32 v15, v43, v15
	v_dual_mul_f32 v1, v18, v1 :: v_dual_fmac_f32 v22, v9, v42
	s_delay_alu instid0(VALU_DEP_4) | instskip(SKIP_1) | instid1(VALU_DEP_3)
	v_fmac_f32_e32 v3, v33, v2
	v_dual_add_f32 v9, v75, v73 :: v_dual_add_f32 v18, v25, v88
	v_fmac_f32_e32 v1, v19, v0
	v_fma_f32 v0, v32, v2, -v16
	v_fma_f32 v2, v8, v42, -v20
	v_add_f32_e32 v8, v24, v75
	v_add_f32_e32 v34, v87, v81
	v_dual_add_f32 v35, v81, v21 :: v_dual_sub_f32 v16, v88, v82
	v_dual_add_f32 v19, v88, v82 :: v_dual_sub_f32 v20, v75, v73
	v_dual_add_f32 v32, v83, v17 :: v_dual_add_f32 v75, v40, v46
	v_dual_add_f32 v8, v8, v73 :: v_dual_add_f32 v73, v11, v78
	v_add_f32_e32 v18, v18, v82
	v_add_f32_e32 v82, v78, v10
	v_sub_f32_e32 v78, v78, v10
	v_add_f32_e32 v23, v86, v83
	v_sub_f32_e32 v33, v81, v21
	;; [unrolled: 2-line block ×3, first 2 shown]
	v_dual_add_f32 v21, v34, v21 :: v_dual_add_f32 v34, v65, v6
	v_fmac_f32_e32 v87, -0.5, v35
	v_add_f32_e32 v35, v6, v30
	v_fma_f32 v24, -0.5, v9, v24
	v_sub_f32_e32 v42, v83, v17
	v_dual_add_f32 v17, v23, v17 :: v_dual_fmac_f32 v86, -0.5, v32
	v_add_f32_e32 v48, v27, v91
	v_dual_add_f32 v10, v73, v10 :: v_dual_fmac_f32 v65, -0.5, v35
	v_fmamk_f32 v35, v16, 0x3f5db3d7, v24
	v_dual_fmac_f32 v24, 0xbf5db3d7, v16 :: v_dual_sub_f32 v45, v91, v31
	v_dual_add_f32 v74, v91, v31 :: v_dual_sub_f32 v91, v6, v30
	v_add_f32_e32 v6, v13, v72
	v_add_f32_e32 v30, v34, v30
	v_dual_sub_f32 v34, v4, v2 :: v_dual_sub_f32 v83, v29, v49
	v_add_f32_e32 v85, v89, v29
	v_add_f32_e32 v29, v29, v49
	;; [unrolled: 1-line block ×3, first 2 shown]
	v_dual_fmac_f32 v27, -0.5, v74 :: v_dual_add_f32 v28, v75, v28
	v_add_f32_e32 v74, v72, v0
	s_delay_alu instid0(VALU_DEP_4)
	v_dual_sub_f32 v72, v72, v0 :: v_dual_fmac_f32 v89, -0.5, v29
	v_add_f32_e32 v29, v80, v4
	v_fma_f32 v25, -0.5, v19, v25
	v_dual_add_f32 v19, v6, v0 :: v_dual_add_f32 v0, v8, v17
	v_dual_sub_f32 v43, v5, v47 :: v_dual_add_f32 v48, v92, v5
	v_dual_add_f32 v5, v5, v47 :: v_dual_add_f32 v32, v12, v93
	v_fma_f32 v82, -0.5, v82, v11
	v_fma_f32 v74, -0.5, v74, v13
	s_delay_alu instid0(VALU_DEP_3)
	v_dual_add_f32 v29, v29, v2 :: v_dual_fmac_f32 v92, -0.5, v5
	v_add_f32_e32 v11, v48, v47
	v_fmamk_f32 v47, v20, 0xbf5db3d7, v25
	v_add_f32_e32 v73, v4, v2
	v_dual_fmac_f32 v25, 0x3f5db3d7, v20 :: v_dual_fmamk_f32 v20, v33, 0x3f5db3d7, v86
	v_fmac_f32_e32 v86, 0xbf5db3d7, v33
	v_add_f32_e32 v88, v93, v7
	v_sub_f32_e32 v6, v15, v28
	v_sub_f32_e32 v75, v71, v3
	v_dual_add_f32 v49, v85, v49 :: v_dual_add_f32 v32, v32, v7
	v_sub_f32_e32 v85, v1, v22
	v_fma_f32 v88, -0.5, v88, v12
	v_dual_fmac_f32 v80, -0.5, v73 :: v_dual_sub_f32 v23, v93, v7
	v_add_f32_e32 v7, v70, v1
	v_sub_f32_e32 v2, v8, v17
	v_add_f32_e32 v8, v10, v30
	v_dual_add_f32 v12, v19, v29 :: v_dual_fmamk_f32 v33, v42, 0xbf5db3d7, v87
	v_dual_fmac_f32 v87, 0x3f5db3d7, v42 :: v_dual_fmamk_f32 v42, v45, 0x3f5db3d7, v44
	v_dual_add_f32 v1, v1, v22 :: v_dual_fmac_f32 v44, 0xbf5db3d7, v45
	v_fmamk_f32 v45, v68, 0xbf5db3d7, v27
	v_dual_fmac_f32 v27, 0x3f5db3d7, v68 :: v_dual_fmamk_f32 v68, v75, 0x3f5db3d7, v74
	v_fmac_f32_e32 v74, 0xbf5db3d7, v75
	v_fmac_f32_e32 v40, -0.5, v81
	v_fmac_f32_e32 v70, -0.5, v1
	v_sub_f32_e32 v10, v10, v30
	v_dual_add_f32 v22, v7, v22 :: v_dual_add_f32 v9, v32, v11
	s_delay_alu instid0(VALU_DEP_4) | instskip(SKIP_4) | instid1(VALU_DEP_4)
	v_fmamk_f32 v17, v83, 0x3f5db3d7, v40
	v_fmac_f32_e32 v40, 0xbf5db3d7, v83
	v_fmamk_f32 v30, v34, 0xbf5db3d7, v70
	v_dual_fmac_f32 v70, 0x3f5db3d7, v34 :: v_dual_sub_f32 v11, v32, v11
	v_fmamk_f32 v48, v78, 0xbf5db3d7, v88
	v_dual_mul_f32 v34, -0.5, v40 :: v_dual_add_f32 v81, v14, v71
	v_dual_add_f32 v71, v71, v3 :: v_dual_fmac_f32 v88, 0x3f5db3d7, v78
	global_inv scope:SCOPE_SE
	v_add_f32_e32 v26, v81, v3
	v_dual_fmac_f32 v14, -0.5, v71 :: v_dual_mul_f32 v81, 0x3f5db3d7, v30
	s_delay_alu instid0(VALU_DEP_2)
	v_add_f32_e32 v13, v26, v22
	v_sub_f32_e32 v16, v26, v22
	v_dual_mul_f32 v26, -0.5, v86 :: v_dual_add_f32 v1, v18, v21
	v_sub_f32_e32 v3, v18, v21
	v_fmamk_f32 v18, v46, 0xbf5db3d7, v89
	v_fmamk_f32 v21, v43, 0x3f5db3d7, v65
	v_fmac_f32_e32 v65, 0xbf5db3d7, v43
	v_fmamk_f32 v73, v72, 0xbf5db3d7, v14
	v_fmac_f32_e32 v14, 0x3f5db3d7, v72
	v_mul_f32_e32 v32, 0x3f5db3d7, v18
	v_add_f32_e32 v4, v15, v28
	v_fmamk_f32 v28, v85, 0x3f5db3d7, v80
	v_fmac_f32_e32 v80, 0xbf5db3d7, v85
	v_mul_f32_e32 v72, -0.5, v65
	v_add_f32_e32 v5, v31, v49
	v_sub_f32_e32 v7, v31, v49
	v_mul_f32_e32 v31, -0.5, v87
	v_dual_mul_f32 v83, -0.5, v80 :: v_dual_mul_f32 v22, 0x3f5db3d7, v33
	v_mul_f32_e32 v75, 0xbf5db3d7, v21
	v_fmac_f32_e32 v26, 0x3f5db3d7, v87
	s_delay_alu instid0(VALU_DEP_4)
	v_fmac_f32_e32 v31, 0xbf5db3d7, v86
	v_mul_f32_e32 v86, -0.5, v70
	v_fmac_f32_e32 v83, 0x3f5db3d7, v70
	v_sub_f32_e32 v15, v19, v29
	v_mul_f32_e32 v29, 0xbf5db3d7, v20
	v_fmac_f32_e32 v22, 0.5, v20
	v_fmac_f32_e32 v86, 0xbf5db3d7, v80
	v_dual_fmac_f32 v89, 0x3f5db3d7, v46 :: v_dual_fmamk_f32 v46, v23, 0x3f5db3d7, v82
	v_fmac_f32_e32 v82, 0xbf5db3d7, v23
	v_dual_fmamk_f32 v23, v91, 0xbf5db3d7, v92 :: v_dual_add_f32 v70, v74, v83
	v_dual_sub_f32 v74, v74, v83 :: v_dual_mul_f32 v43, 0xbf5db3d7, v17
	v_fmac_f32_e32 v92, 0x3f5db3d7, v91
	s_delay_alu instid0(VALU_DEP_3)
	v_mul_f32_e32 v71, 0x3f5db3d7, v23
	v_fmac_f32_e32 v75, 0.5, v23
	v_fmac_f32_e32 v81, 0.5, v28
	;; [unrolled: 1-line block ×3, first 2 shown]
	v_dual_mul_f32 v49, -0.5, v89 :: v_dual_mul_f32 v78, -0.5, v92
	v_dual_fmac_f32 v32, 0.5, v17 :: v_dual_mul_f32 v85, 0xbf5db3d7, v28
	v_fmac_f32_e32 v34, 0x3f5db3d7, v89
	v_fmac_f32_e32 v71, 0.5, v21
	v_dual_add_f32 v19, v24, v26 :: v_dual_add_f32 v20, v25, v31
	v_dual_sub_f32 v23, v24, v26 :: v_dual_sub_f32 v24, v25, v31
	v_dual_add_f32 v26, v45, v43 :: v_dual_add_f32 v17, v35, v22
	v_sub_f32_e32 v21, v35, v22
	v_sub_f32_e32 v31, v45, v43
	v_add_f32_e32 v35, v48, v75
	v_sub_f32_e32 v45, v48, v75
	v_add_f32_e32 v48, v68, v81
	v_fmac_f32_e32 v29, 0.5, v33
	v_fmac_f32_e32 v49, 0xbf5db3d7, v40
	v_fmac_f32_e32 v72, 0x3f5db3d7, v92
	v_dual_fmac_f32 v78, 0xbf5db3d7, v65 :: v_dual_fmac_f32 v85, 0.5, v30
	v_dual_add_f32 v25, v42, v32 :: v_dual_add_f32 v28, v44, v34
	v_sub_f32_e32 v30, v42, v32
	v_sub_f32_e32 v32, v44, v34
	;; [unrolled: 1-line block ×3, first 2 shown]
	v_add_f32_e32 v18, v47, v29
	v_sub_f32_e32 v22, v47, v29
	v_add_f32_e32 v34, v46, v71
	v_add_f32_e32 v42, v82, v72
	v_sub_f32_e32 v46, v82, v72
	v_sub_f32_e32 v72, v68, v81
	v_add_f32_e32 v29, v27, v49
	v_sub_f32_e32 v33, v27, v49
	v_add_f32_e32 v43, v88, v78
	;; [unrolled: 2-line block ×3, first 2 shown]
	v_add_f32_e32 v71, v14, v86
	v_sub_f32_e32 v73, v73, v85
	v_sub_f32_e32 v75, v14, v86
	v_add_nc_u32_e32 v40, 0xd00, v50
	ds_store_2addr_b64 v63, v[0:1], v[17:18] offset1:36
	ds_store_2addr_b64 v63, v[19:20], v[2:3] offset0:72 offset1:108
	ds_store_2addr_b64 v63, v[21:22], v[23:24] offset0:144 offset1:180
	ds_store_2addr_b64 v76, v[4:5], v[25:26] offset1:36
	ds_store_2addr_b64 v76, v[28:29], v[6:7] offset0:72 offset1:108
	ds_store_2addr_b64 v76, v[30:31], v[32:33] offset0:144 offset1:180
	;; [unrolled: 3-line block ×4, first 2 shown]
	v_sub_nc_u16 v8, v62, v90
	v_lshrrev_b16 v9, 3, v84
	v_add_nc_u16 v16, v36, 0x2d0
	global_wb scope:SCOPE_SE
	s_wait_dscnt 0x0
	s_barrier_signal -1
	v_and_b32_e32 v32, 0xffff, v8
	v_and_b32_e32 v8, 0xffff, v9
	v_lshrrev_b16 v18, 3, v16
	s_barrier_wait -1
	global_inv scope:SCOPE_SE
	global_load_b128 v[0:3], v64, s[4:5] offset:1680
	v_mul_u32_u24_e32 v12, 0x12f7, v8
	v_and_b32_e32 v18, 0xffff, v18
	global_load_b128 v[4:7], v[66:67], off offset:1680
	v_mul_u32_u24_e32 v9, 3, v32
	global_load_b64 v[62:63], v64, s[4:5] offset:1696
	v_lshrrev_b32_e32 v33, 17, v12
	v_mul_u32_u24_e32 v18, 0x12f7, v18
	global_load_b64 v[65:66], v[66:67], off offset:1696
	v_lshlrev_b32_e32 v17, 3, v9
	global_load_b128 v[8:11], v64, s[4:5] offset:3408
	v_mul_lo_u16 v19, 0xd8, v33
	v_lshrrev_b32_e32 v18, 17, v18
	s_clause 0x2
	global_load_b64 v[67:68], v64, s[4:5] offset:3424
	global_load_b128 v[12:15], v17, s[4:5] offset:1680
	global_load_b64 v[70:71], v17, s[4:5] offset:1696
	v_sub_nc_u16 v19, v84, v19
	v_mul_lo_u16 v18, 0xd8, v18
	s_wait_alu 0xf1ff
	v_cndmask_b32_e64 v42, 0, 0x1b00, s0
	v_mul_u32_u24_e32 v43, 3, v61
	v_lshlrev_b32_e32 v44, 3, v69
	v_and_b32_e32 v34, 0xffff, v19
	v_sub_nc_u16 v16, v16, v18
	v_lshl_add_u32 v32, v32, 3, 0
	v_mul_u32_u24_e32 v33, 0x1b00, v33
	v_lshlrev_b32_e32 v81, 3, v43
	v_mul_u32_u24_e32 v19, 3, v34
	v_and_b32_e32 v35, 0xffff, v16
	v_lshlrev_b32_e32 v34, 3, v34
	v_add3_u32 v77, 0, v42, v44
	v_add_nc_u32_e32 v79, 0x3600, v32
	v_lshlrev_b32_e32 v24, 3, v19
	v_mul_u32_u24_e32 v20, 3, v35
	v_lshl_add_u32 v35, v35, 3, 0
	v_add_nc_u32_e32 v80, 0x4300, v32
	v_add3_u32 v82, 0, v33, v34
	global_load_b128 v[16:19], v24, s[4:5] offset:1680
	v_lshlrev_b32_e32 v25, 3, v20
	s_clause 0x2
	global_load_b128 v[20:23], v25, s[4:5] offset:1680
	global_load_b64 v[72:73], v24, s[4:5] offset:1696
	global_load_b64 v[74:75], v25, s[4:5] offset:1696
	ds_load_2addr_b64 v[28:31], v52 offset0:64 offset1:208
	ds_load_2addr_b64 v[24:27], v55 offset0:96 offset1:240
	v_add_nc_u32_e32 v83, 0x5000, v35
	v_add_nc_u32_e32 v84, 0x5e00, v35
	ds_load_2addr_b64 v[32:35], v60 offset0:32 offset1:176
	ds_load_2addr_b64 v[42:45], v51 offset1:144
	ds_load_2addr_b64 v[46:49], v58 offset0:96 offset1:240
	v_add_nc_u32_e32 v78, 0xd00, v77
	v_add_nc_u32_e32 v76, 0x2a00, v50
	s_wait_loadcnt_dscnt 0xb04
	v_dual_mul_f32 v86, v3, v28 :: v_dual_add_nc_u32 v91, 0xd00, v82
	s_wait_dscnt 0x3
	v_mul_f32_e32 v61, v1, v25
	v_mul_f32_e32 v85, v1, v24
	;; [unrolled: 1-line block ×3, first 2 shown]
	s_wait_loadcnt 0xa
	v_mul_f32_e32 v87, v27, v5
	v_mul_f32_e32 v88, v26, v5
	v_dual_fmac_f32 v86, v2, v29 :: v_dual_mul_f32 v5, v31, v7
	v_mul_f32_e32 v29, v30, v7
	s_delay_alu instid0(VALU_DEP_4) | instskip(NEXT) | instid1(VALU_DEP_4)
	v_fma_f32 v87, v26, v4, -v87
	v_fmac_f32_e32 v88, v27, v4
	s_wait_loadcnt_dscnt 0x701
	v_mul_f32_e32 v4, v43, v9
	v_fma_f32 v30, v30, v6, -v5
	v_fmac_f32_e32 v29, v31, v6
	v_mul_f32_e32 v31, v42, v9
	s_wait_dscnt 0x0
	v_mul_f32_e32 v5, v47, v11
	v_fma_f32 v61, v0, v24, -v61
	v_fmac_f32_e32 v85, v0, v25
	v_fma_f32 v28, v2, v28, -v1
	ds_load_2addr_b64 v[0:3], v57 offset0:64 offset1:208
	ds_load_2addr_b64 v[24:27], v56 offset0:32 offset1:176
	s_wait_loadcnt 0x5
	v_mul_f32_e32 v9, v45, v13
	v_mul_f32_e32 v90, v44, v13
	v_fma_f32 v42, v42, v8, -v4
	v_fmac_f32_e32 v31, v43, v8
	v_fma_f32 v43, v46, v10, -v5
	ds_load_2addr_b64 v[4:7], v53 offset1:144
	v_mul_f32_e32 v89, v46, v11
	v_mul_f32_e32 v8, v49, v15
	;; [unrolled: 1-line block ×3, first 2 shown]
	v_fma_f32 v44, v44, v12, -v9
	v_fmac_f32_e32 v90, v45, v12
	v_mul_f32_e32 v12, v63, v33
	v_fmac_f32_e32 v89, v47, v10
	v_mul_f32_e32 v45, v63, v32
	v_fma_f32 v47, v48, v14, -v8
	v_fmac_f32_e32 v46, v49, v14
	v_fma_f32 v32, v62, v32, -v12
	ds_load_2addr_b64 v[12:15], v59 offset0:96 offset1:240
	v_mul_f32_e32 v48, v35, v66
	v_mul_f32_e32 v49, v34, v66
	v_fmac_f32_e32 v45, v62, v33
	s_wait_loadcnt_dscnt 0x403
	v_dual_mul_f32 v33, v1, v68 :: v_dual_mul_f32 v62, v2, v71
	v_fma_f32 v34, v34, v65, -v48
	v_fmac_f32_e32 v49, v35, v65
	v_dual_mul_f32 v35, v0, v68 :: v_dual_mul_f32 v48, v3, v71
	s_wait_loadcnt_dscnt 0x302
	v_mul_f32_e32 v63, v25, v17
	v_mul_f32_e32 v65, v24, v17
	s_wait_dscnt 0x1
	v_mul_f32_e32 v17, v5, v19
	v_mul_f32_e32 v66, v4, v19
	ds_load_2addr_b64 v[8:11], v50 offset1:144
	v_fma_f32 v33, v0, v67, -v33
	v_fmac_f32_e32 v35, v1, v67
	v_fma_f32 v48, v2, v70, -v48
	v_fmac_f32_e32 v62, v3, v70
	ds_load_2addr_b64 v[0:3], v54 offset0:32 offset1:176
	v_fma_f32 v24, v24, v16, -v63
	v_fmac_f32_e32 v65, v25, v16
	v_fma_f32 v4, v4, v18, -v17
	v_fmac_f32_e32 v66, v5, v18
	ds_load_2addr_b64 v[16:19], v37 offset0:64 offset1:208
	s_wait_loadcnt 0x2
	v_mul_f32_e32 v5, v27, v21
	v_mul_f32_e32 v21, v26, v21
	s_wait_loadcnt_dscnt 0x103
	v_mul_f32_e32 v25, v13, v73
	v_sub_f32_e32 v33, v42, v33
	global_wb scope:SCOPE_SE
	s_wait_loadcnt_dscnt 0x0
	v_fma_f32 v26, v26, v20, -v5
	v_mul_f32_e32 v5, v12, v73
	v_fmac_f32_e32 v21, v27, v20
	v_mul_f32_e32 v20, v7, v23
	v_mul_f32_e32 v23, v6, v23
	;; [unrolled: 1-line block ×3, first 2 shown]
	v_fmac_f32_e32 v5, v13, v72
	v_mul_f32_e32 v13, v14, v75
	v_fma_f32 v12, v12, v72, -v25
	v_fma_f32 v6, v6, v22, -v20
	v_fmac_f32_e32 v23, v7, v22
	v_fma_f32 v7, v14, v74, -v27
	v_dual_fmac_f32 v13, v15, v74 :: v_dual_sub_f32 v14, v8, v28
	v_sub_f32_e32 v15, v9, v86
	v_sub_f32_e32 v20, v61, v32
	v_dual_sub_f32 v22, v85, v45 :: v_dual_sub_f32 v25, v10, v30
	v_sub_f32_e32 v27, v11, v29
	v_dual_sub_f32 v28, v87, v34 :: v_dual_sub_f32 v29, v88, v49
	v_sub_f32_e32 v30, v0, v43
	v_sub_f32_e32 v32, v1, v89
	;; [unrolled: 1-line block ×5, first 2 shown]
	v_dual_sub_f32 v45, v44, v48 :: v_dual_sub_f32 v46, v90, v62
	v_dual_sub_f32 v47, v16, v4 :: v_dual_sub_f32 v48, v17, v66
	;; [unrolled: 1-line block ×4, first 2 shown]
	v_sub_f32_e32 v23, v26, v7
	v_sub_f32_e32 v13, v21, v13
	v_fma_f32 v66, v8, 2.0, -v14
	v_fma_f32 v67, v9, 2.0, -v15
	v_fma_f32 v61, v61, 2.0, -v20
	v_fma_f32 v68, v85, 2.0, -v22
	v_dual_sub_f32 v4, v14, v22 :: v_dual_add_f32 v5, v15, v20
	v_fma_f32 v70, v10, 2.0, -v25
	v_fma_f32 v71, v11, 2.0, -v27
	v_fma_f32 v20, v87, 2.0, -v28
	v_fma_f32 v22, v88, 2.0, -v29
	v_dual_sub_f32 v6, v25, v29 :: v_dual_add_f32 v7, v27, v28
	;; [unrolled: 5-line block ×3, first 2 shown]
	v_fma_f32 v74, v2, 2.0, -v35
	v_fma_f32 v75, v3, 2.0, -v43
	;; [unrolled: 1-line block ×4, first 2 shown]
	v_add_f32_e32 v3, v43, v45
	v_fma_f32 v85, v16, 2.0, -v47
	v_fma_f32 v86, v17, 2.0, -v48
	;; [unrolled: 1-line block ×8, first 2 shown]
	v_dual_add_f32 v9, v48, v12 :: v_dual_sub_f32 v10, v62, v13
	v_dual_sub_f32 v12, v66, v61 :: v_dual_sub_f32 v13, v67, v68
	v_dual_sub_f32 v16, v70, v20 :: v_dual_sub_f32 v17, v71, v22
	v_sub_f32_e32 v8, v47, v49
	v_dual_sub_f32 v20, v72, v28 :: v_dual_sub_f32 v21, v73, v29
	v_dual_sub_f32 v24, v74, v31 :: v_dual_add_nc_u32 v69, 0x1d00, v50
	v_sub_f32_e32 v2, v35, v46
	v_add_f32_e32 v11, v63, v23
	v_fma_f32 v18, v25, 2.0, -v6
	v_fma_f32 v23, v32, 2.0, -v1
	v_dual_sub_f32 v25, v75, v33 :: v_dual_sub_f32 v28, v85, v34
	v_dual_sub_f32 v29, v86, v42 :: v_dual_sub_f32 v32, v65, v44
	v_sub_f32_e32 v33, v87, v45
	v_fma_f32 v14, v14, 2.0, -v4
	v_fma_f32 v15, v15, 2.0, -v5
	;; [unrolled: 1-line block ×12, first 2 shown]
	s_barrier_signal -1
	s_barrier_wait -1
	global_inv scope:SCOPE_SE
	v_fma_f32 v26, v35, 2.0, -v2
	v_fma_f32 v31, v48, 2.0, -v9
	;; [unrolled: 1-line block ×10, first 2 shown]
	ds_store_2addr_b64 v40, v[12:13], v[4:5] offset0:16 offset1:232
	ds_store_2addr_b64 v50, v[42:43], v[14:15] offset1:216
	ds_store_2addr_b64 v77, v[44:45], v[18:19] offset1:216
	ds_store_2addr_b64 v78, v[16:17], v[6:7] offset0:16 offset1:232
	ds_store_2addr_b64 v69, v[46:47], v[22:23] offset0:8 offset1:224
	;; [unrolled: 1-line block ×3, first 2 shown]
	ds_store_2addr_b64 v79, v[48:49], v[26:27] offset1:216
	ds_store_2addr_b64 v80, v[24:25], v[2:3] offset0:16 offset1:232
	ds_store_2addr_b64 v82, v[61:62], v[30:31] offset1:216
	ds_store_2addr_b64 v91, v[28:29], v[8:9] offset0:16 offset1:232
	ds_store_2addr_b64 v83, v[65:66], v[34:35] offset0:32 offset1:248
	;; [unrolled: 1-line block ×3, first 2 shown]
	global_wb scope:SCOPE_SE
	s_wait_dscnt 0x0
	s_barrier_signal -1
	s_barrier_wait -1
	global_inv scope:SCOPE_SE
	s_clause 0x6
	global_load_b128 v[0:3], v64, s[4:5] offset:6864
	global_load_b128 v[4:7], v81, s[4:5] offset:6864
	;; [unrolled: 1-line block ×4, first 2 shown]
	global_load_b64 v[73:74], v64, s[4:5] offset:6880
	global_load_b64 v[75:76], v81, s[4:5] offset:6880
	;; [unrolled: 1-line block ×3, first 2 shown]
	v_add_nc_u32_e32 v20, 0x2880, v81
	s_clause 0x1
	global_load_b64 v[79:80], v81, s[4:5] offset:13792
	global_load_b128 v[16:19], v20, s[4:5] offset:6864
	v_add_nc_u32_e32 v24, 0x3600, v81
	s_clause 0x2
	global_load_b64 v[81:82], v20, s[4:5] offset:6880
	global_load_b128 v[20:23], v24, s[4:5] offset:6864
	global_load_b64 v[83:84], v24, s[4:5] offset:6880
	ds_load_2addr_b64 v[24:27], v55 offset0:96 offset1:240
	ds_load_2addr_b64 v[28:31], v52 offset0:64 offset1:208
	ds_load_2addr_b64 v[32:35], v50 offset1:144
	ds_load_2addr_b64 v[42:45], v60 offset0:32 offset1:176
	ds_load_2addr_b64 v[46:49], v54 offset0:32 offset1:176
	ds_load_2addr_b64 v[61:64], v51 offset1:144
	ds_load_2addr_b64 v[65:68], v58 offset0:96 offset1:240
	ds_load_2addr_b64 v[69:72], v57 offset0:64 offset1:208
	s_wait_loadcnt_dscnt 0xb06
	v_mul_f32_e32 v86, v3, v28
	v_mul_f32_e32 v40, v1, v25
	;; [unrolled: 1-line block ×4, first 2 shown]
	s_wait_loadcnt 0xa
	v_mul_f32_e32 v87, v27, v5
	v_mul_f32_e32 v88, v26, v5
	v_dual_fmac_f32 v86, v2, v29 :: v_dual_mul_f32 v5, v31, v7
	v_mul_f32_e32 v29, v30, v7
	s_delay_alu instid0(VALU_DEP_4) | instskip(NEXT) | instid1(VALU_DEP_4)
	v_fma_f32 v87, v26, v4, -v87
	v_fmac_f32_e32 v88, v27, v4
	s_wait_loadcnt_dscnt 0x902
	v_mul_f32_e32 v4, v62, v9
	v_fma_f32 v30, v30, v6, -v5
	v_fmac_f32_e32 v29, v31, v6
	v_mul_f32_e32 v31, v61, v9
	s_wait_dscnt 0x1
	v_mul_f32_e32 v5, v66, v11
	v_mul_f32_e32 v89, v65, v11
	s_wait_loadcnt 0x8
	v_mul_f32_e32 v9, v64, v13
	v_fma_f32 v40, v0, v24, -v40
	v_fmac_f32_e32 v85, v0, v25
	ds_load_2addr_b64 v[24:27], v56 offset0:32 offset1:176
	v_mul_f32_e32 v13, v63, v13
	v_fma_f32 v61, v61, v8, -v4
	v_fmac_f32_e32 v31, v62, v8
	v_fma_f32 v62, v65, v10, -v5
	v_fmac_f32_e32 v89, v66, v10
	ds_load_2addr_b64 v[4:7], v53 offset1:144
	v_fma_f32 v63, v63, v12, -v9
	ds_load_2addr_b64 v[8:11], v59 offset0:96 offset1:240
	v_fma_f32 v28, v2, v28, -v1
	ds_load_2addr_b64 v[0:3], v37 offset0:64 offset1:208
	v_fmac_f32_e32 v13, v64, v12
	v_mul_f32_e32 v12, v68, v15
	s_wait_loadcnt 0x7
	v_dual_mul_f32 v15, v67, v15 :: v_dual_mul_f32 v64, v74, v42
	s_wait_loadcnt 0x6
	v_mul_f32_e32 v65, v45, v76
	v_mul_f32_e32 v66, v44, v76
	v_fma_f32 v12, v67, v14, -v12
	v_dual_fmac_f32 v15, v68, v14 :: v_dual_mul_f32 v14, v74, v43
	s_wait_loadcnt_dscnt 0x504
	v_mul_f32_e32 v67, v70, v78
	v_mul_f32_e32 v68, v69, v78
	s_wait_loadcnt 0x4
	v_mul_f32_e32 v74, v72, v80
	v_mul_f32_e32 v76, v71, v80
	v_fma_f32 v14, v73, v42, -v14
	v_fmac_f32_e32 v64, v73, v43
	s_wait_loadcnt_dscnt 0x303
	v_mul_f32_e32 v42, v25, v17
	v_mul_f32_e32 v17, v24, v17
	v_fma_f32 v43, v44, v75, -v65
	v_fmac_f32_e32 v66, v45, v75
	s_wait_dscnt 0x2
	v_mul_f32_e32 v44, v5, v19
	v_mul_f32_e32 v19, v4, v19
	s_wait_loadcnt_dscnt 0x201
	v_mul_f32_e32 v45, v9, v82
	v_mul_f32_e32 v65, v8, v82
	s_wait_loadcnt 0x1
	v_mul_f32_e32 v73, v27, v21
	v_mul_f32_e32 v21, v26, v21
	v_fma_f32 v67, v69, v77, -v67
	v_dual_fmac_f32 v68, v70, v77 :: v_dual_mul_f32 v69, v7, v23
	v_mul_f32_e32 v23, v6, v23
	v_fma_f32 v70, v71, v79, -v74
	s_wait_loadcnt 0x0
	v_dual_fmac_f32 v76, v72, v79 :: v_dual_mul_f32 v71, v11, v84
	v_mul_f32_e32 v72, v10, v84
	v_fma_f32 v24, v24, v16, -v42
	v_fmac_f32_e32 v17, v25, v16
	v_fma_f32 v4, v4, v18, -v44
	v_fmac_f32_e32 v19, v5, v18
	;; [unrolled: 2-line block ×6, first 2 shown]
	v_sub_f32_e32 v18, v32, v28
	v_sub_f32_e32 v20, v33, v86
	v_dual_sub_f32 v8, v40, v14 :: v_dual_sub_f32 v9, v85, v64
	v_dual_sub_f32 v22, v34, v30 :: v_dual_sub_f32 v25, v35, v29
	;; [unrolled: 1-line block ×4, first 2 shown]
	v_sub_f32_e32 v14, v61, v67
	v_sub_f32_e32 v28, v31, v68
	v_dual_sub_f32 v29, v48, v12 :: v_dual_sub_f32 v30, v49, v15
	v_dual_sub_f32 v12, v63, v70 :: v_dual_sub_f32 v15, v13, v76
	s_wait_dscnt 0x0
	v_dual_sub_f32 v42, v0, v4 :: v_dual_sub_f32 v43, v1, v19
	v_sub_f32_e32 v19, v24, v5
	v_dual_sub_f32 v44, v17, v65 :: v_dual_sub_f32 v45, v2, v6
	v_sub_f32_e32 v62, v3, v23
	v_dual_sub_f32 v23, v16, v7 :: v_dual_sub_f32 v64, v21, v72
	v_fma_f32 v65, v32, 2.0, -v18
	v_fma_f32 v66, v33, 2.0, -v20
	;; [unrolled: 1-line block ×4, first 2 shown]
	v_dual_sub_f32 v4, v18, v9 :: v_dual_add_f32 v5, v20, v8
	v_fma_f32 v40, v34, 2.0, -v22
	v_fma_f32 v67, v35, 2.0, -v25
	;; [unrolled: 1-line block ×4, first 2 shown]
	v_dual_sub_f32 v6, v22, v11 :: v_dual_add_f32 v7, v25, v10
	v_fma_f32 v46, v46, 2.0, -v26
	v_fma_f32 v47, v47, 2.0, -v27
	v_fma_f32 v61, v61, 2.0, -v14
	v_fma_f32 v31, v31, 2.0, -v28
	v_sub_f32_e32 v8, v26, v28
	v_fma_f32 v48, v48, 2.0, -v29
	v_fma_f32 v49, v49, 2.0, -v30
	v_fma_f32 v28, v63, 2.0, -v12
	v_fma_f32 v63, v13, 2.0, -v15
	v_sub_f32_e32 v10, v29, v15
	;; [unrolled: 5-line block ×3, first 2 shown]
	v_fma_f32 v44, v2, 2.0, -v45
	v_fma_f32 v72, v3, 2.0, -v62
	v_fma_f32 v73, v16, 2.0, -v23
	v_fma_f32 v74, v21, 2.0, -v64
	v_add_f32_e32 v9, v27, v14
	v_add_f32_e32 v11, v30, v12
	v_dual_add_f32 v1, v43, v19 :: v_dual_sub_f32 v2, v45, v64
	v_dual_add_f32 v3, v62, v23 :: v_dual_sub_f32 v12, v65, v32
	v_sub_f32_e32 v13, v66, v33
	v_fma_f32 v14, v18, 2.0, -v4
	v_fma_f32 v15, v20, 2.0, -v5
	v_dual_sub_f32 v16, v40, v34 :: v_dual_sub_f32 v17, v67, v35
	v_fma_f32 v18, v22, 2.0, -v6
	v_fma_f32 v19, v25, 2.0, -v7
	v_dual_sub_f32 v20, v46, v61 :: v_dual_sub_f32 v21, v47, v31
	v_fma_f32 v22, v26, 2.0, -v8
	v_dual_sub_f32 v24, v48, v28 :: v_dual_sub_f32 v25, v49, v63
	;; [unrolled: 2-line block ×3, first 2 shown]
	v_sub_f32_e32 v32, v44, v73
	v_sub_f32_e32 v33, v72, v74
	v_fma_f32 v23, v27, 2.0, -v9
	v_fma_f32 v27, v30, 2.0, -v11
	;; [unrolled: 1-line block ×6, first 2 shown]
	global_wb scope:SCOPE_SE
	s_barrier_signal -1
	s_barrier_wait -1
	global_inv scope:SCOPE_SE
	ds_store_2addr_b64 v60, v[4:5], v[6:7] offset0:32 offset1:176
	ds_store_2addr_b64 v57, v[8:9], v[10:11] offset0:64 offset1:208
	;; [unrolled: 1-line block ×3, first 2 shown]
	v_fma_f32 v0, v65, 2.0, -v12
	v_fma_f32 v1, v66, 2.0, -v13
	;; [unrolled: 1-line block ×12, first 2 shown]
	ds_store_2addr_b64 v55, v[14:15], v[18:19] offset0:96 offset1:240
	ds_store_2addr_b64 v52, v[12:13], v[16:17] offset0:64 offset1:208
	ds_store_2addr_b64 v51, v[22:23], v[26:27] offset1:144
	ds_store_2addr_b64 v58, v[20:21], v[24:25] offset0:96 offset1:240
	ds_store_2addr_b64 v56, v[30:31], v[34:35] offset0:32 offset1:176
	ds_store_2addr_b64 v53, v[28:29], v[32:33] offset1:144
	ds_store_2addr_b64 v50, v[0:1], v[2:3] offset1:144
	ds_store_2addr_b64 v54, v[4:5], v[6:7] offset0:32 offset1:176
	ds_store_2addr_b64 v37, v[8:9], v[10:11] offset0:64 offset1:208
	global_wb scope:SCOPE_SE
	s_wait_dscnt 0x0
	s_barrier_signal -1
	s_barrier_wait -1
	global_inv scope:SCOPE_SE
	s_and_saveexec_b32 s0, vcc_lo
	s_cbranch_execz .LBB0_19
; %bb.18:
	v_dual_mov_b32 v37, v41 :: v_dual_add_nc_u32 v40, 0x90, v36
	v_lshl_add_u32 v26, v36, 3, 0
	v_add_co_u32 v32, vcc_lo, s8, v38
	s_delay_alu instid0(VALU_DEP_3)
	v_lshlrev_b64_e32 v[4:5], 3, v[36:37]
	s_wait_alu 0xfffd
	v_add_co_ci_u32_e32 v33, vcc_lo, s9, v39, vcc_lo
	v_add_nc_u32_e32 v6, 0x800, v26
	ds_load_2addr_b64 v[0:3], v26 offset1:144
	v_lshlrev_b64_e32 v[8:9], 3, v[40:41]
	v_add_nc_u32_e32 v40, 0x120, v36
	v_add_co_u32 v10, vcc_lo, v32, v4
	s_wait_alu 0xfffd
	v_add_co_ci_u32_e32 v11, vcc_lo, v33, v5, vcc_lo
	ds_load_2addr_b64 v[4:7], v6 offset0:32 offset1:176
	v_lshlrev_b64_e32 v[12:13], 3, v[40:41]
	v_add_nc_u32_e32 v40, 0x1b0, v36
	v_add_co_u32 v8, vcc_lo, v32, v8
	s_wait_alu 0xfffd
	v_add_co_ci_u32_e32 v9, vcc_lo, v33, v9, vcc_lo
	s_delay_alu instid0(VALU_DEP_3) | instskip(SKIP_4) | instid1(VALU_DEP_4)
	v_lshlrev_b64_e32 v[14:15], 3, v[40:41]
	v_add_co_u32 v12, vcc_lo, v32, v12
	v_add_nc_u32_e32 v40, 0x240, v36
	s_wait_alu 0xfffd
	v_add_co_ci_u32_e32 v13, vcc_lo, v33, v13, vcc_lo
	v_add_co_u32 v14, vcc_lo, v32, v14
	s_wait_alu 0xfffd
	v_add_co_ci_u32_e32 v15, vcc_lo, v33, v15, vcc_lo
	v_add_nc_u32_e32 v18, 0x1000, v26
	v_lshlrev_b64_e32 v[16:17], 3, v[40:41]
	v_add_nc_u32_e32 v40, 0x2d0, v36
	s_wait_dscnt 0x1
	s_clause 0x1
	global_store_b64 v[10:11], v[0:1], off
	global_store_b64 v[8:9], v[2:3], off
	s_wait_dscnt 0x0
	s_clause 0x1
	global_store_b64 v[12:13], v[4:5], off
	global_store_b64 v[14:15], v[6:7], off
	v_add_nc_u32_e32 v4, 0x1800, v26
	ds_load_2addr_b64 v[0:3], v18 offset0:64 offset1:208
	v_add_nc_u32_e32 v18, 0x2400, v26
	v_lshlrev_b64_e32 v[8:9], 3, v[40:41]
	v_add_nc_u32_e32 v40, 0x360, v36
	ds_load_2addr_b64 v[4:7], v4 offset0:96 offset1:240
	v_add_co_u32 v10, vcc_lo, v32, v16
	s_wait_alu 0xfffd
	v_add_co_ci_u32_e32 v11, vcc_lo, v33, v17, vcc_lo
	v_lshlrev_b64_e32 v[12:13], 3, v[40:41]
	v_add_nc_u32_e32 v40, 0x3f0, v36
	v_add_co_u32 v8, vcc_lo, v32, v8
	s_wait_alu 0xfffd
	v_add_co_ci_u32_e32 v9, vcc_lo, v33, v9, vcc_lo
	s_delay_alu instid0(VALU_DEP_3) | instskip(SKIP_4) | instid1(VALU_DEP_4)
	v_lshlrev_b64_e32 v[14:15], 3, v[40:41]
	v_add_co_u32 v12, vcc_lo, v32, v12
	v_add_nc_u32_e32 v40, 0x480, v36
	s_wait_alu 0xfffd
	v_add_co_ci_u32_e32 v13, vcc_lo, v33, v13, vcc_lo
	v_add_co_u32 v14, vcc_lo, v32, v14
	s_wait_alu 0xfffd
	v_add_co_ci_u32_e32 v15, vcc_lo, v33, v15, vcc_lo
	v_lshlrev_b64_e32 v[16:17], 3, v[40:41]
	v_add_nc_u32_e32 v40, 0x510, v36
	s_wait_dscnt 0x1
	s_clause 0x1
	global_store_b64 v[10:11], v[0:1], off
	global_store_b64 v[8:9], v[2:3], off
	s_wait_dscnt 0x0
	s_clause 0x1
	global_store_b64 v[12:13], v[4:5], off
	global_store_b64 v[14:15], v[6:7], off
	v_add_nc_u32_e32 v4, 0x2c00, v26
	ds_load_2addr_b64 v[0:3], v18 offset1:144
	v_add_nc_u32_e32 v18, 0x3400, v26
	v_lshlrev_b64_e32 v[8:9], 3, v[40:41]
	v_add_nc_u32_e32 v40, 0x5a0, v36
	ds_load_2addr_b64 v[4:7], v4 offset0:32 offset1:176
	v_add_co_u32 v10, vcc_lo, v32, v16
	s_wait_alu 0xfffd
	v_add_co_ci_u32_e32 v11, vcc_lo, v33, v17, vcc_lo
	v_lshlrev_b64_e32 v[12:13], 3, v[40:41]
	v_add_nc_u32_e32 v40, 0x630, v36
	v_add_co_u32 v8, vcc_lo, v32, v8
	s_wait_alu 0xfffd
	v_add_co_ci_u32_e32 v9, vcc_lo, v33, v9, vcc_lo
	s_delay_alu instid0(VALU_DEP_3) | instskip(SKIP_4) | instid1(VALU_DEP_4)
	v_lshlrev_b64_e32 v[14:15], 3, v[40:41]
	v_add_co_u32 v12, vcc_lo, v32, v12
	v_add_nc_u32_e32 v40, 0x6c0, v36
	s_wait_alu 0xfffd
	v_add_co_ci_u32_e32 v13, vcc_lo, v33, v13, vcc_lo
	v_add_co_u32 v14, vcc_lo, v32, v14
	s_wait_alu 0xfffd
	v_add_co_ci_u32_e32 v15, vcc_lo, v33, v15, vcc_lo
	v_lshlrev_b64_e32 v[16:17], 3, v[40:41]
	v_add_nc_u32_e32 v40, 0x750, v36
	s_wait_dscnt 0x1
	s_clause 0x1
	global_store_b64 v[10:11], v[0:1], off
	global_store_b64 v[8:9], v[2:3], off
	s_wait_dscnt 0x0
	s_clause 0x1
	global_store_b64 v[12:13], v[4:5], off
	global_store_b64 v[14:15], v[6:7], off
	v_add_nc_u32_e32 v4, 0x3c00, v26
	ds_load_2addr_b64 v[0:3], v18 offset0:64 offset1:208
	v_add_nc_u32_e32 v18, 0x4800, v26
	v_lshlrev_b64_e32 v[8:9], 3, v[40:41]
	v_add_nc_u32_e32 v40, 0x7e0, v36
	ds_load_2addr_b64 v[4:7], v4 offset0:96 offset1:240
	v_add_co_u32 v10, vcc_lo, v32, v16
	s_wait_alu 0xfffd
	v_add_co_ci_u32_e32 v11, vcc_lo, v33, v17, vcc_lo
	v_lshlrev_b64_e32 v[12:13], 3, v[40:41]
	v_add_nc_u32_e32 v40, 0x870, v36
	v_add_co_u32 v8, vcc_lo, v32, v8
	s_wait_alu 0xfffd
	v_add_co_ci_u32_e32 v9, vcc_lo, v33, v9, vcc_lo
	s_delay_alu instid0(VALU_DEP_3) | instskip(SKIP_4) | instid1(VALU_DEP_3)
	v_lshlrev_b64_e32 v[14:15], 3, v[40:41]
	v_add_nc_u32_e32 v40, 0x900, v36
	v_add_co_u32 v12, vcc_lo, v32, v12
	s_wait_alu 0xfffd
	v_add_co_ci_u32_e32 v13, vcc_lo, v33, v13, vcc_lo
	v_lshlrev_b64_e32 v[16:17], 3, v[40:41]
	v_add_nc_u32_e32 v40, 0x990, v36
	v_add_co_u32 v14, vcc_lo, v32, v14
	s_wait_alu 0xfffd
	v_add_co_ci_u32_e32 v15, vcc_lo, v33, v15, vcc_lo
	s_wait_dscnt 0x1
	s_clause 0x1
	global_store_b64 v[10:11], v[0:1], off
	global_store_b64 v[8:9], v[2:3], off
	s_wait_dscnt 0x0
	s_clause 0x1
	global_store_b64 v[12:13], v[4:5], off
	global_store_b64 v[14:15], v[6:7], off
	v_lshlrev_b64_e32 v[4:5], 3, v[40:41]
	v_add_nc_u32_e32 v40, 0xa20, v36
	v_add_co_u32 v16, vcc_lo, v32, v16
	s_wait_alu 0xfffd
	v_add_co_ci_u32_e32 v17, vcc_lo, v33, v17, vcc_lo
	s_delay_alu instid0(VALU_DEP_3)
	v_lshlrev_b64_e32 v[8:9], 3, v[40:41]
	v_add_nc_u32_e32 v40, 0xab0, v36
	ds_load_2addr_b64 v[0:3], v18 offset1:144
	v_add_co_u32 v18, vcc_lo, v32, v4
	v_add_nc_u32_e32 v6, 0x5000, v26
	v_lshlrev_b64_e32 v[10:11], 3, v[40:41]
	v_add_nc_u32_e32 v40, 0xb40, v36
	s_wait_alu 0xfffd
	v_add_co_ci_u32_e32 v19, vcc_lo, v33, v5, vcc_lo
	v_add_co_u32 v20, vcc_lo, v32, v8
	s_delay_alu instid0(VALU_DEP_3)
	v_lshlrev_b64_e32 v[12:13], 3, v[40:41]
	v_add_nc_u32_e32 v40, 0xbd0, v36
	v_add_nc_u32_e32 v8, 0x5800, v26
	s_wait_alu 0xfffd
	v_add_co_ci_u32_e32 v21, vcc_lo, v33, v9, vcc_lo
	v_add_co_u32 v22, vcc_lo, v32, v10
	v_add_nc_u32_e32 v14, 0x6000, v26
	ds_load_2addr_b64 v[4:7], v6 offset0:32 offset1:176
	v_lshlrev_b64_e32 v[24:25], 3, v[40:41]
	v_add_nc_u32_e32 v40, 0xc60, v36
	s_wait_alu 0xfffd
	v_add_co_ci_u32_e32 v23, vcc_lo, v33, v11, vcc_lo
	ds_load_2addr_b64 v[8:11], v8 offset0:64 offset1:208
	v_add_co_u32 v26, vcc_lo, v32, v12
	s_wait_alu 0xfffd
	v_add_co_ci_u32_e32 v27, vcc_lo, v33, v13, vcc_lo
	ds_load_2addr_b64 v[12:15], v14 offset0:96 offset1:240
	v_lshlrev_b64_e32 v[28:29], 3, v[40:41]
	v_add_nc_u32_e32 v40, 0xcf0, v36
	v_add_co_u32 v24, vcc_lo, v32, v24
	s_wait_alu 0xfffd
	v_add_co_ci_u32_e32 v25, vcc_lo, v33, v25, vcc_lo
	s_delay_alu instid0(VALU_DEP_3) | instskip(SKIP_3) | instid1(VALU_DEP_3)
	v_lshlrev_b64_e32 v[30:31], 3, v[40:41]
	v_add_co_u32 v28, vcc_lo, v32, v28
	s_wait_alu 0xfffd
	v_add_co_ci_u32_e32 v29, vcc_lo, v33, v29, vcc_lo
	v_add_co_u32 v30, vcc_lo, v32, v30
	s_wait_alu 0xfffd
	v_add_co_ci_u32_e32 v31, vcc_lo, v33, v31, vcc_lo
	s_wait_dscnt 0x3
	s_clause 0x1
	global_store_b64 v[16:17], v[0:1], off
	global_store_b64 v[18:19], v[2:3], off
	s_wait_dscnt 0x2
	s_clause 0x1
	global_store_b64 v[20:21], v[4:5], off
	global_store_b64 v[22:23], v[6:7], off
	;; [unrolled: 4-line block ×4, first 2 shown]
.LBB0_19:
	s_nop 0
	s_sendmsg sendmsg(MSG_DEALLOC_VGPRS)
	s_endpgm
	.section	.rodata,"a",@progbits
	.p2align	6, 0x0
	.amdhsa_kernel fft_rtc_fwd_len3456_factors_6_6_6_4_4_wgs_144_tpt_144_halfLds_sp_ip_CI_unitstride_sbrr_C2R_dirReg
		.amdhsa_group_segment_fixed_size 0
		.amdhsa_private_segment_fixed_size 0
		.amdhsa_kernarg_size 88
		.amdhsa_user_sgpr_count 2
		.amdhsa_user_sgpr_dispatch_ptr 0
		.amdhsa_user_sgpr_queue_ptr 0
		.amdhsa_user_sgpr_kernarg_segment_ptr 1
		.amdhsa_user_sgpr_dispatch_id 0
		.amdhsa_user_sgpr_private_segment_size 0
		.amdhsa_wavefront_size32 1
		.amdhsa_uses_dynamic_stack 0
		.amdhsa_enable_private_segment 0
		.amdhsa_system_sgpr_workgroup_id_x 1
		.amdhsa_system_sgpr_workgroup_id_y 0
		.amdhsa_system_sgpr_workgroup_id_z 0
		.amdhsa_system_sgpr_workgroup_info 0
		.amdhsa_system_vgpr_workitem_id 0
		.amdhsa_next_free_vgpr 99
		.amdhsa_next_free_sgpr 32
		.amdhsa_reserve_vcc 1
		.amdhsa_float_round_mode_32 0
		.amdhsa_float_round_mode_16_64 0
		.amdhsa_float_denorm_mode_32 3
		.amdhsa_float_denorm_mode_16_64 3
		.amdhsa_fp16_overflow 0
		.amdhsa_workgroup_processor_mode 1
		.amdhsa_memory_ordered 1
		.amdhsa_forward_progress 0
		.amdhsa_round_robin_scheduling 0
		.amdhsa_exception_fp_ieee_invalid_op 0
		.amdhsa_exception_fp_denorm_src 0
		.amdhsa_exception_fp_ieee_div_zero 0
		.amdhsa_exception_fp_ieee_overflow 0
		.amdhsa_exception_fp_ieee_underflow 0
		.amdhsa_exception_fp_ieee_inexact 0
		.amdhsa_exception_int_div_zero 0
	.end_amdhsa_kernel
	.text
.Lfunc_end0:
	.size	fft_rtc_fwd_len3456_factors_6_6_6_4_4_wgs_144_tpt_144_halfLds_sp_ip_CI_unitstride_sbrr_C2R_dirReg, .Lfunc_end0-fft_rtc_fwd_len3456_factors_6_6_6_4_4_wgs_144_tpt_144_halfLds_sp_ip_CI_unitstride_sbrr_C2R_dirReg
                                        ; -- End function
	.section	.AMDGPU.csdata,"",@progbits
; Kernel info:
; codeLenInByte = 14376
; NumSgprs: 34
; NumVgprs: 99
; ScratchSize: 0
; MemoryBound: 0
; FloatMode: 240
; IeeeMode: 1
; LDSByteSize: 0 bytes/workgroup (compile time only)
; SGPRBlocks: 4
; VGPRBlocks: 12
; NumSGPRsForWavesPerEU: 34
; NumVGPRsForWavesPerEU: 99
; Occupancy: 12
; WaveLimiterHint : 1
; COMPUTE_PGM_RSRC2:SCRATCH_EN: 0
; COMPUTE_PGM_RSRC2:USER_SGPR: 2
; COMPUTE_PGM_RSRC2:TRAP_HANDLER: 0
; COMPUTE_PGM_RSRC2:TGID_X_EN: 1
; COMPUTE_PGM_RSRC2:TGID_Y_EN: 0
; COMPUTE_PGM_RSRC2:TGID_Z_EN: 0
; COMPUTE_PGM_RSRC2:TIDIG_COMP_CNT: 0
	.text
	.p2alignl 7, 3214868480
	.fill 96, 4, 3214868480
	.type	__hip_cuid_b102aad922cfe321,@object ; @__hip_cuid_b102aad922cfe321
	.section	.bss,"aw",@nobits
	.globl	__hip_cuid_b102aad922cfe321
__hip_cuid_b102aad922cfe321:
	.byte	0                               ; 0x0
	.size	__hip_cuid_b102aad922cfe321, 1

	.ident	"AMD clang version 19.0.0git (https://github.com/RadeonOpenCompute/llvm-project roc-6.4.0 25133 c7fe45cf4b819c5991fe208aaa96edf142730f1d)"
	.section	".note.GNU-stack","",@progbits
	.addrsig
	.addrsig_sym __hip_cuid_b102aad922cfe321
	.amdgpu_metadata
---
amdhsa.kernels:
  - .args:
      - .actual_access:  read_only
        .address_space:  global
        .offset:         0
        .size:           8
        .value_kind:     global_buffer
      - .offset:         8
        .size:           8
        .value_kind:     by_value
      - .actual_access:  read_only
        .address_space:  global
        .offset:         16
        .size:           8
        .value_kind:     global_buffer
      - .actual_access:  read_only
        .address_space:  global
        .offset:         24
        .size:           8
        .value_kind:     global_buffer
      - .offset:         32
        .size:           8
        .value_kind:     by_value
      - .actual_access:  read_only
        .address_space:  global
        .offset:         40
        .size:           8
        .value_kind:     global_buffer
      - .actual_access:  read_only
        .address_space:  global
        .offset:         48
        .size:           8
        .value_kind:     global_buffer
      - .offset:         56
        .size:           4
        .value_kind:     by_value
      - .actual_access:  read_only
        .address_space:  global
        .offset:         64
        .size:           8
        .value_kind:     global_buffer
      - .actual_access:  read_only
        .address_space:  global
        .offset:         72
        .size:           8
        .value_kind:     global_buffer
      - .address_space:  global
        .offset:         80
        .size:           8
        .value_kind:     global_buffer
    .group_segment_fixed_size: 0
    .kernarg_segment_align: 8
    .kernarg_segment_size: 88
    .language:       OpenCL C
    .language_version:
      - 2
      - 0
    .max_flat_workgroup_size: 144
    .name:           fft_rtc_fwd_len3456_factors_6_6_6_4_4_wgs_144_tpt_144_halfLds_sp_ip_CI_unitstride_sbrr_C2R_dirReg
    .private_segment_fixed_size: 0
    .sgpr_count:     34
    .sgpr_spill_count: 0
    .symbol:         fft_rtc_fwd_len3456_factors_6_6_6_4_4_wgs_144_tpt_144_halfLds_sp_ip_CI_unitstride_sbrr_C2R_dirReg.kd
    .uniform_work_group_size: 1
    .uses_dynamic_stack: false
    .vgpr_count:     99
    .vgpr_spill_count: 0
    .wavefront_size: 32
    .workgroup_processor_mode: 1
amdhsa.target:   amdgcn-amd-amdhsa--gfx1201
amdhsa.version:
  - 1
  - 2
...

	.end_amdgpu_metadata
